;; amdgpu-corpus repo=ROCm/aiter kind=harvested arch=n/a opt=n/a

/root/src/amdgpu-assembly/repos/ROCm__aiter/hsa/gfx942/mla/mla_a8w8_qh16_qseqlen4_gqaratio16.co:	file format elf64-amdgpu

Disassembly of section .text:

0000000000002300 <_ZN5aiter33mla_a8w8_qh16_qseqlen4_gqaratio16E>:
	s_and_b32 s1, s1, 0xffff                                   // 000000002300: 8601FF01 0000FFFF
	s_load_dwordx2 s[8:9], s[0:1], 0x0                         // 000000002308: C0060200 00000000
	s_load_dwordx2 s[12:13], s[0:1], 0x10                      // 000000002310: C0060300 00000010
	s_load_dwordx2 s[16:17], s[0:1], 0x20                      // 000000002318: C0060400 00000020
	s_load_dwordx2 s[20:21], s[0:1], 0x30                      // 000000002320: C0060500 00000030
	s_load_dwordx2 s[28:29], s[0:1], 0x40                      // 000000002328: C0060700 00000040
	s_load_dwordx2 s[24:25], s[0:1], 0x50                      // 000000002330: C0060600 00000050
	s_load_dwordx2 s[30:31], s[0:1], 0x60                      // 000000002338: C0060780 00000060
	s_load_dword s64, s[0:1], 0x70                             // 000000002340: C0021000 00000070
	s_load_dword s65, s[0:1], 0x80                             // 000000002348: C0021040 00000080
	s_load_dword s67, s[0:1], 0x90                             // 000000002350: C00210C0 00000090
	s_load_dword s66, s[0:1], 0xa0                             // 000000002358: C0021080 000000A0
	s_load_dword s68, s[0:1], 0xb0                             // 000000002360: C0021100 000000B0
	s_load_dword s69, s[0:1], 0xc0                             // 000000002368: C0021140 000000C0
	s_load_dwordx2 s[32:33], s[0:1], 0xd0                      // 000000002370: C0060800 000000D0
	s_load_dwordx2 s[58:59], s[0:1], 0x100                     // 000000002378: C0060E80 00000100
	s_load_dwordx2 s[60:61], s[0:1], 0x110                     // 000000002380: C0060F00 00000110
	v_lshrrev_b32_e32 v1, 10, v0                               // 000000002388: 2002008A
	v_lshrrev_b32_e32 v2, 10, v1                               // 00000000238C: 2004028A
	v_and_b32_e32 v2, 0x3ff, v2                                // 000000002390: 260404FF 000003FF
	v_and_b32_e32 v1, 0x3ff, v1                                // 000000002398: 260202FF 000003FF
	v_and_b32_e32 v0, 0x3ff, v0                                // 0000000023A0: 260000FF 000003FF
	v_lshrrev_b32_e32 v3, 6, v0                                // 0000000023A8: 20060086
	v_and_b32_e32 v0, 63, v0                                   // 0000000023AC: 260000BF
	s_mov_b32 s2, s2                                           // 0000000023B0: BE820002
	s_mov_b32 s3, s3                                           // 0000000023B4: BE830003
	s_mov_b32 s4, s4                                           // 0000000023B8: BE840004
	v_readfirstlane_b32 s7, v3                                 // 0000000023BC: 7E0E0503
	s_waitcnt lgkmcnt(0)                                       // 0000000023C0: BF8CC07F
	s_mov_b32 s65, 16                                          // 0000000023C4: BEC10090
	s_mul_i32 s56, s3, 4                                       // 0000000023C8: 92388403
	s_and_b32 s29, s29, 0xffff                                 // 0000000023CC: 861DFF1D 0000FFFF
	s_and_b32 s31, s31, 0xffff                                 // 0000000023D4: 861FFF1F 0000FFFF
	s_add_u32 s28, s56, s28                                    // 0000000023DC: 801C1C38
	s_addc_u32 s29, 0, s29                                     // 0000000023E0: 821D1D80
	s_load_dword s47, s[28:29], 0x0                            // 0000000023E4: C0020BCE 00000000
	s_load_dword s46, s[28:29], 0x4                            // 0000000023EC: C0020B8E 00000004
	s_mul_i32 s56, s3, 4                                       // 0000000023F4: 92388403
	s_and_b32 s33, s33, 0xffff                                 // 0000000023F8: 8621FF21 0000FFFF
	s_add_u32 s32, s56, s32                                    // 000000002400: 80202038
	s_addc_u32 s33, 0, s33                                     // 000000002404: 82212180
	s_load_dword s79, s[32:33], 0x0                            // 000000002408: C00213D0 00000000
	s_load_dword s78, s[32:33], 0x4                            // 000000002410: C0021390 00000004
	s_mul_i32 s75, 0x800, s65                                  // 000000002418: 924B41FF 00000800
	s_mul_i32 s74, 0x240, s65                                  // 000000002420: 924A41FF 00000240
	s_mul_i32 s56, 4, s65                                      // 000000002428: 92384184
	s_mov_b32 s10, s75                                         // 00000000242C: BE8A004B
	s_mov_b32 s18, -16                                         // 000000002430: BE9200D0
	s_mov_b32 s14, s56                                         // 000000002434: BE8E0038
	s_mov_b32 s22, -16                                         // 000000002438: BE9600D0
	s_mov_b32 s26, -16                                         // 00000000243C: BE9A00D0
	s_mov_b32 s11, 0x20000                                     // 000000002440: BE8B00FF 00020000
	s_mov_b32 s19, 0x20000                                     // 000000002448: BE9300FF 00020000
	s_mov_b32 s15, 0x20000                                     // 000000002450: BE8F00FF 00020000
	s_mov_b32 s23, 0x20000                                     // 000000002458: BE9700FF 00020000
	s_mov_b32 s27, 0x20000                                     // 000000002460: BE9B00FF 00020000
	s_and_b32 s9, s9, 0xffff                                   // 000000002468: 8609FF09 0000FFFF
	s_and_b32 s17, s17, 0xffff                                 // 000000002470: 8611FF11 0000FFFF
	s_and_b32 s13, s13, 0xffff                                 // 000000002478: 860DFF0D 0000FFFF
	s_and_b32 s21, s21, 0xffff                                 // 000000002480: 8615FF15 0000FFFF
	s_and_b32 s25, s25, 0xffff                                 // 000000002488: 8619FF19 0000FFFF
	s_and_b32 s59, s59, 0xffff                                 // 000000002490: 863BFF3B 0000FFFF
	s_and_b32 s61, s61, 0xffff                                 // 000000002498: 863DFF3D 0000FFFF
	s_or_b32 s9, s9, 0x40000                                   // 0000000024A0: 8709FF09 00040000
	s_or_b32 s17, s17, 0x40000                                 // 0000000024A8: 8711FF11 00040000
	s_or_b32 s13, s13, 0x40000                                 // 0000000024B0: 870DFF0D 00040000
	s_or_b32 s21, s21, 0x40000                                 // 0000000024B8: 8715FF15 00040000
	s_or_b32 s25, s25, 0x40000                                 // 0000000024C0: 8719FF19 00040000
	s_waitcnt lgkmcnt(0)                                       // 0000000024C8: BF8CC07F
	s_load_dword s42, s[58:59], 0x0                            // 0000000024CC: C0020A9D 00000000
	s_load_dword s43, s[60:61], 0x0                            // 0000000024D4: C0020ADE 00000000
	s_mul_i32 s80, s2, 8                                       // 0000000024DC: 92508802
	s_sub_u32 s81, s78, s79                                    // 0000000024E0: 80D14F4E
	s_cmp_le_u32 s81, s80                                      // 0000000024E4: BF0B5051
	s_cbranch_scc1 label_1B75                                  // 0000000024E8: BF851AFA
	s_mov_b32 s69, 0                                           // 0000000024EC: BEC50080
	s_lshr_b32 s44, 32, s69                                    // 0000000024F0: 8F2C45A0
	s_mul_i32 s73, s44, 4                                      // 0000000024F4: 9249842C
	s_mul_i32 s73, s73, s67                                    // 0000000024F8: 92494349
	s_mul_i32 s45, s4, s44                                     // 0000000024FC: 922D2C04
	s_sub_u32 s50, s46, s47                                    // 000000002500: 80B22F2E
	s_lshl_b32 s56, s50, s69                                   // 000000002504: 8E384532
	s_sub_u32 s82, s56, s81                                    // 000000002508: 80D25138
	s_mul_i32 s57, s2, 8                                       // 00000000250C: 92398802
	s_add_u32 s82, s82, s57                                    // 000000002510: 80523952
	s_add_u32 s57, s82, 8                                      // 000000002514: 80398852
	s_min_u32 s56, s56, s57                                    // 000000002518: 83B83938
	s_lshr_b32 s50, s56, s69                                   // 00000000251C: 8F324538
	s_lshl_b32 s56, s45, s69                                   // 000000002520: 8E38452D
	s_add_u32 s83, s56, 31                                     // 000000002524: 80539F38
	s_mul_i32 s84, s67, 32                                     // 000000002528: 9254A043
	s_cmp_le_u32 s50, s45                                      // 00000000252C: BF0B2D32
	s_cbranch_scc1 label_1B75                                  // 000000002530: BF851AE8
	s_mul_i32 s56, s50, 4                                      // 000000002534: 92388432
	s_mov_b32 s26, s56                                         // 000000002538: BE9A0038
	s_mul_i32 s56, s47, 4                                      // 00000000253C: 9238842F
	s_add_u32 s24, s56, s24                                    // 000000002540: 80181838
	s_addc_u32 s25, 0, s25                                     // 000000002544: 82191980
	s_mov_b32 s70, 0                                           // 000000002548: BEC60080
	s_sub_u32 s71, s50, s45                                    // 00000000254C: 80C72D32
	s_mul_i32 s39, s67, s44                                    // 000000002550: 92272C43
	s_mov_b32 s38, s71                                         // 000000002554: BEA60047
	v_cvt_f32_u32_e32 v20, s39                                 // 000000002558: 7E280C27
	s_sub_i32 s56, 0, s39                                      // 00000000255C: 81B82780
	v_rcp_iflag_f32_e32 v20, v20                               // 000000002560: 7E284714
	s_nop 0                                                    // 000000002564: BF800000
	v_mul_f32_e32 v20, 0x4f7ffffe, v20                         // 000000002568: 0A2828FF 4F7FFFFE
	v_cvt_u32_f32_e32 v20, v20                                 // 000000002570: 7E280F14
	v_mul_lo_u32 v21, s56, v20                                 // 000000002574: D2850015 00022838
	v_mul_hi_u32 v21, v20, v21                                 // 00000000257C: D2860015 00022B14
	v_add_u32_e32 v20, v20, v21                                // 000000002584: 68282B14
	v_mul_hi_u32 v20, s38, v20                                 // 000000002588: D2860014 00022826
	v_mul_lo_u32 v21, v20, s39                                 // 000000002590: D2850015 00004F14
	v_sub_u32_e32 v23, s38, v21                                // 000000002598: 6A2E2A26
	v_add_u32_e32 v22, 1, v20                                  // 00000000259C: 682C2881
	v_cmp_le_u32_e32 vcc, s39, v23                             // 0000000025A0: 7D962E27
	v_subrev_u32_e32 v21, s39, v23                             // 0000000025A4: 6C2A2E27
	s_nop 0                                                    // 0000000025A8: BF800000
	v_cndmask_b32_e32 v20, v20, v22, vcc                       // 0000000025AC: 00282D14
	v_cndmask_b32_e32 v23, v23, v21, vcc                       // 0000000025B0: 002E2B17
	v_add_u32_e32 v21, 1, v20                                  // 0000000025B4: 682A2881
	v_cmp_le_u32_e32 vcc, s39, v23                             // 0000000025B8: 7D962E27
	s_nop 1                                                    // 0000000025BC: BF800001
	v_cndmask_b32_e32 v23, v20, v21, vcc                       // 0000000025C0: 002E2B14
	s_nop 3                                                    // 0000000025C4: BF800003
	v_readfirstlane_b32 s40, v23                               // 0000000025C8: 7E500517
	s_nop 3                                                    // 0000000025CC: BF800003
	s_mov_b32 s71, s40                                         // 0000000025D0: BEC70028
	s_mul_i32 s56, s71, s39                                    // 0000000025D4: 92382747
	s_sub_u32 s56, s38, s56                                    // 0000000025D8: 80B83826
	s_mov_b32 s57, 0                                           // 0000000025DC: BEB90080
	s_cmp_lt_u32 s56, s44                                      // 0000000025E0: BF0A2C38
	s_cselect_b32 s57, s57, 1                                  // 0000000025E4: 85398139
	s_add_u32 s71, s57, s71                                    // 0000000025E8: 80474739
	s_cmpk_eq_u32 s57, 0x1                                     // 0000000025EC: B4390001
	s_cselect_b32 s49, 0, s56                                  // 0000000025F0: 85313880
	s_mov_b32 s48, s49                                         // 0000000025F4: BEB00031
	v_lshrrev_b32_e32 v20, 3, v0                               // 0000000025F8: 20280083
	v_and_b32_e32 v21, 1, v20                                  // 0000000025FC: 262A2881
	v_lshlrev_b32_e32 v8, 3, v21                               // 000000002600: 24102A83
	v_and_b32_e32 v20, 4, v20                                  // 000000002604: 26282884
	v_add_u32_e32 v8, v8, v20                                  // 000000002608: 68102908
	v_lshrrev_b32_e32 v20, 4, v0                               // 00000000260C: 20280084
	v_lshlrev_b32_e32 v21, 2, v20                              // 000000002610: 242A2882
	v_lshrrev_b32_e32 v20, 5, v0                               // 000000002614: 20280085
	v_lshlrev_b32_e32 v20, 2, v20                              // 000000002618: 24282882
	v_add_u32_e32 v21, v20, v21                                // 00000000261C: 682A2B14
	v_add_u32_e32 v8, v21, v8                                  // 000000002620: 68101115
	v_add_u32_e64 v8, v8, s7                                   // 000000002624: D1340008 00000F08
	v_add_u32_e32 v8, s45, v8                                  // 00000000262C: 6810102D
	v_lshlrev_b32_e32 v8, 2, v8                                // 000000002630: 24101082
	buffer_load_dword v10, v8, s[24:27], 0 offen               // 000000002634: E0501000 80060A08
	v_add_u32_e32 v8, s73, v8                                  // 00000000263C: 68101049
	buffer_load_dword v11, v8, s[24:27], 0 offen               // 000000002640: E0501000 80060B08
	v_add_u32_e32 v8, s73, v8                                  // 000000002648: 68101049
	s_add_u32 s56, s80, s79                                    // 00000000264C: 80384F50
	v_mov_b32_e32 v20, s56                                     // 000000002650: 7E280238
	v_mul_lo_u32 v21, s74, v20                                 // 000000002654: D2850015 0002284A
	v_mul_hi_u32 v22, s74, v20                                 // 00000000265C: D2860016 0002284A
	s_nop 2                                                    // 000000002664: BF800002
	v_readfirstlane_b32 s56, v21                               // 000000002668: 7E700515
	v_readfirstlane_b32 s57, v22                               // 00000000266C: 7E720516
	s_nop 4                                                    // 000000002670: BF800004
	s_add_u32 s16, s56, s16                                    // 000000002674: 80101038
	s_addc_u32 s17, s57, s17                                   // 000000002678: 82111139
	s_sub_u32 s56, s81, s80                                    // 00000000267C: 80B85051
	s_mul_i32 s56, s56, s74                                    // 000000002680: 92384A38
	s_mov_b32 s18, s56                                         // 000000002684: BE920038
	s_mul_i32 s56, s7, 0x240                                   // 000000002688: 9238FF07 00000240
	v_lshlrev_b32_e32 v38, 2, v0                               // 000000002690: 244C0082
	v_add_u32_e32 v38, s56, v38                                // 000000002694: 684C4C38
	s_mul_i32 s56, s7, 0xc20                                   // 000000002698: 9238FF07 00000C20
	s_add_u32 s34, 0, s56                                      // 0000000026A0: 80223880
	s_add_u32 s35, 0x3080, s34                                 // 0000000026A4: 802322FF 00003080
	s_add_u32 s36, 0x3080, s35                                 // 0000000026AC: 802423FF 00003080
	v_lshrrev_b32_e32 v20, 4, v0                               // 0000000026B4: 20280084
	v_lshlrev_b32_e32 v21, 2, v20                              // 0000000026B8: 242A2882
	v_and_b32_e32 v20, 15, v0                                  // 0000000026BC: 2628008F
	v_lshrrev_b32_e32 v22, 2, v20                              // 0000000026C0: 202C2882
	v_mul_i32_i24_e32 v22, 0xc0, v22                           // 0000000026C4: 0C2C2CFF 000000C0
	v_add_u32_e32 v21, v22, v21                                // 0000000026CC: 682A2B16
	v_and_b32_e32 v20, 3, v0                                   // 0000000026D0: 26280083
	v_mul_i32_i24_e32 v22, 0x308, v20                          // 0000000026D4: 0C2C28FF 00000308
	v_add_u32_e32 v21, v22, v21                                // 0000000026DC: 682A2B16
	v_lshlrev_b32_e32 v37, 2, v21                              // 0000000026E0: 244A2A82
	s_mov_b32 m0, s34                                          // 0000000026E4: BEFC0022
	v_add_u32_e32 v36, 0, v38                                  // 0000000026E8: 68484C80
	buffer_load_dword v36, s[16:19], 0 offen lds               // 0000000026EC: E0511000 80040024
	buffer_load_dword v36, s[16:19], 0 offen offset:256 lds    // 0000000026F4: E0511100 80040024
	buffer_load_dword v36, s[16:19], 0 offen offset:512 lds    // 0000000026FC: E0511200 80040024
	s_add_u32 m0, m0, 0x300                                    // 000000002704: 807CFF7C 00000300
	v_add_u32_e32 v36, 0x900, v36                              // 00000000270C: 684848FF 00000900
	buffer_load_dword v36, s[16:19], 0 offen lds               // 000000002714: E0511000 80040024
	buffer_load_dword v36, s[16:19], 0 offen offset:256 lds    // 00000000271C: E0511100 80040024
	buffer_load_dword v36, s[16:19], 0 offen offset:512 lds    // 000000002724: E0511200 80040024
	s_add_u32 m0, m0, 0x300                                    // 00000000272C: 807CFF7C 00000300
	v_add_u32_e32 v36, 0x900, v36                              // 000000002734: 684848FF 00000900
	buffer_load_dword v36, s[16:19], 0 offen lds               // 00000000273C: E0511000 80040024
	buffer_load_dword v36, s[16:19], 0 offen offset:256 lds    // 000000002744: E0511100 80040024
	buffer_load_dword v36, s[16:19], 0 offen offset:512 lds    // 00000000274C: E0511200 80040024
	s_add_u32 m0, m0, 0x300                                    // 000000002754: 807CFF7C 00000300
	v_add_u32_e32 v36, 0x900, v36                              // 00000000275C: 684848FF 00000900
	buffer_load_dword v36, s[16:19], 0 offen lds               // 000000002764: E0511000 80040024
	buffer_load_dword v36, s[16:19], 0 offen offset:256 lds    // 00000000276C: E0511100 80040024
	buffer_load_dword v36, s[16:19], 0 offen offset:512 lds    // 000000002774: E0511200 80040024
	s_add_u32 m0, m0, 0x300                                    // 00000000277C: 807CFF7C 00000300
	v_add_u32_e32 v36, 0x900, v36                              // 000000002784: 684848FF 00000900
	s_mov_b32 m0, s35                                          // 00000000278C: BEFC0023
	v_add_u32_e32 v36, 0x2400, v38                             // 000000002790: 68484CFF 00002400
	buffer_load_dword v36, s[16:19], 0 offen lds               // 000000002798: E0511000 80040024
	buffer_load_dword v36, s[16:19], 0 offen offset:256 lds    // 0000000027A0: E0511100 80040024
	buffer_load_dword v36, s[16:19], 0 offen offset:512 lds    // 0000000027A8: E0511200 80040024
	s_add_u32 m0, m0, 0x300                                    // 0000000027B0: 807CFF7C 00000300
	v_add_u32_e32 v36, 0x900, v36                              // 0000000027B8: 684848FF 00000900
	buffer_load_dword v36, s[16:19], 0 offen lds               // 0000000027C0: E0511000 80040024
	buffer_load_dword v36, s[16:19], 0 offen offset:256 lds    // 0000000027C8: E0511100 80040024
	buffer_load_dword v36, s[16:19], 0 offen offset:512 lds    // 0000000027D0: E0511200 80040024
	s_add_u32 m0, m0, 0x300                                    // 0000000027D8: 807CFF7C 00000300
	v_add_u32_e32 v36, 0x900, v36                              // 0000000027E0: 684848FF 00000900
	buffer_load_dword v36, s[16:19], 0 offen lds               // 0000000027E8: E0511000 80040024
	buffer_load_dword v36, s[16:19], 0 offen offset:256 lds    // 0000000027F0: E0511100 80040024
	buffer_load_dword v36, s[16:19], 0 offen offset:512 lds    // 0000000027F8: E0511200 80040024
	s_add_u32 m0, m0, 0x300                                    // 000000002800: 807CFF7C 00000300
	v_add_u32_e32 v36, 0x900, v36                              // 000000002808: 684848FF 00000900
	buffer_load_dword v36, s[16:19], 0 offen lds               // 000000002810: E0511000 80040024
	buffer_load_dword v36, s[16:19], 0 offen offset:256 lds    // 000000002818: E0511100 80040024
	buffer_load_dword v36, s[16:19], 0 offen offset:512 lds    // 000000002820: E0511200 80040024
	s_add_u32 m0, m0, 0x300                                    // 000000002828: 807CFF7C 00000300
	v_add_u32_e32 v36, 0x900, v36                              // 000000002830: 684848FF 00000900
	s_waitcnt vmcnt(12)                                        // 000000002838: BF8C0F7C
	s_barrier                                                  // 00000000283C: BF8A0000
	s_waitcnt lgkmcnt(0)                                       // 000000002840: BF8CC07F
	s_mov_b32 m0, s36                                          // 000000002844: BEFC0024
	v_add_u32_e32 v36, 0x4800, v38                             // 000000002848: 68484CFF 00004800
	buffer_load_dword v36, s[16:19], 0 offen lds               // 000000002850: E0511000 80040024
	buffer_load_dword v36, s[16:19], 0 offen offset:256 lds    // 000000002858: E0511100 80040024
	buffer_load_dword v36, s[16:19], 0 offen offset:512 lds    // 000000002860: E0511200 80040024
	s_add_u32 m0, m0, 0x300                                    // 000000002868: 807CFF7C 00000300
	v_add_u32_e32 v36, 0x900, v36                              // 000000002870: 684848FF 00000900
	buffer_load_dword v36, s[16:19], 0 offen lds               // 000000002878: E0511000 80040024
	buffer_load_dword v36, s[16:19], 0 offen offset:256 lds    // 000000002880: E0511100 80040024
	buffer_load_dword v36, s[16:19], 0 offen offset:512 lds    // 000000002888: E0511200 80040024
	s_add_u32 m0, m0, 0x300                                    // 000000002890: 807CFF7C 00000300
	v_add_u32_e32 v36, 0x900, v36                              // 000000002898: 684848FF 00000900
	buffer_load_dword v36, s[16:19], 0 offen lds               // 0000000028A0: E0511000 80040024
	buffer_load_dword v36, s[16:19], 0 offen offset:256 lds    // 0000000028A8: E0511100 80040024
	buffer_load_dword v36, s[16:19], 0 offen offset:512 lds    // 0000000028B0: E0511200 80040024
	s_add_u32 m0, m0, 0x300                                    // 0000000028B8: 807CFF7C 00000300
	v_add_u32_e32 v36, 0x900, v36                              // 0000000028C0: 684848FF 00000900
	buffer_load_dword v36, s[16:19], 0 offen lds               // 0000000028C8: E0511000 80040024
	buffer_load_dword v36, s[16:19], 0 offen offset:256 lds    // 0000000028D0: E0511100 80040024
	buffer_load_dword v36, s[16:19], 0 offen offset:512 lds    // 0000000028D8: E0511200 80040024
	s_add_u32 m0, m0, 0x300                                    // 0000000028E0: 807CFF7C 00000300
	v_add_u32_e32 v36, 0x900, v36                              // 0000000028E8: 684848FF 00000900
	s_cmp_eq_i32 s7, 0                                         // 0000000028F0: BF008007
	s_cbranch_scc0 label_0191                                  // 0000000028F4: BF840013
	ds_read_b128 a[0:3], v37                                   // 0000000028F8: DBFE0000 00000025
	ds_read_b128 a[4:7], v37 offset:64                         // 000000002900: DBFE0040 04000025
	ds_read_b128 a[8:11], v37 offset:128                       // 000000002908: DBFE0080 08000025
	ds_read_b128 a[12:15], v37 offset:192                      // 000000002910: DBFE00C0 0C000025
	ds_read_b128 a[16:19], v37 offset:256                      // 000000002918: DBFE0100 10000025
	ds_read_b128 a[20:23], v37 offset:320                      // 000000002920: DBFE0140 14000025
	ds_read_b128 a[24:27], v37 offset:384                      // 000000002928: DBFE0180 18000025
	ds_read_b128 a[28:31], v37 offset:448                      // 000000002930: DBFE01C0 1C000025
	ds_read_b128 a[32:35], v37 offset:512                      // 000000002938: DBFE0200 20000025
	s_waitcnt lgkmcnt(0)                                       // 000000002940: BF8CC07F

0000000000002944 <label_0191>:
	s_waitcnt vmcnt(12)                                        // 000000002944: BF8C0F7C
	s_barrier                                                  // 000000002948: BF8A0000
	s_mov_b32 m0, s34                                          // 00000000294C: BEFC0022
	v_add_u32_e32 v36, 0x6c00, v38                             // 000000002950: 68484CFF 00006C00
	buffer_load_dword v36, s[16:19], 0 offen lds               // 000000002958: E0511000 80040024
	buffer_load_dword v36, s[16:19], 0 offen offset:256 lds    // 000000002960: E0511100 80040024
	buffer_load_dword v36, s[16:19], 0 offen offset:512 lds    // 000000002968: E0511200 80040024
	s_add_u32 m0, m0, 0x300                                    // 000000002970: 807CFF7C 00000300
	v_add_u32_e32 v36, 0x900, v36                              // 000000002978: 684848FF 00000900
	buffer_load_dword v36, s[16:19], 0 offen lds               // 000000002980: E0511000 80040024
	buffer_load_dword v36, s[16:19], 0 offen offset:256 lds    // 000000002988: E0511100 80040024
	buffer_load_dword v36, s[16:19], 0 offen offset:512 lds    // 000000002990: E0511200 80040024
	s_add_u32 m0, m0, 0x300                                    // 000000002998: 807CFF7C 00000300
	v_add_u32_e32 v36, 0x900, v36                              // 0000000029A0: 684848FF 00000900
	buffer_load_dword v36, s[16:19], 0 offen lds               // 0000000029A8: E0511000 80040024
	buffer_load_dword v36, s[16:19], 0 offen offset:256 lds    // 0000000029B0: E0511100 80040024
	buffer_load_dword v36, s[16:19], 0 offen offset:512 lds    // 0000000029B8: E0511200 80040024
	s_add_u32 m0, m0, 0x300                                    // 0000000029C0: 807CFF7C 00000300
	v_add_u32_e32 v36, 0x900, v36                              // 0000000029C8: 684848FF 00000900
	buffer_load_dword v36, s[16:19], 0 offen lds               // 0000000029D0: E0511000 80040024
	buffer_load_dword v36, s[16:19], 0 offen offset:256 lds    // 0000000029D8: E0511100 80040024
	buffer_load_dword v36, s[16:19], 0 offen offset:512 lds    // 0000000029E0: E0511200 80040024
	s_add_u32 m0, m0, 0x300                                    // 0000000029E8: 807CFF7C 00000300
	v_add_u32_e32 v36, 0x900, v36                              // 0000000029F0: 684848FF 00000900
	s_cmp_eq_i32 s7, 1                                         // 0000000029F8: BF008107
	s_cbranch_scc0 label_01D3                                  // 0000000029FC: BF840013
	ds_read_b128 a[0:3], v37 offset:12416                      // 000000002A00: DBFE3080 00000025
	ds_read_b128 a[4:7], v37 offset:12480                      // 000000002A08: DBFE30C0 04000025
	ds_read_b128 a[8:11], v37 offset:12544                     // 000000002A10: DBFE3100 08000025
	ds_read_b128 a[12:15], v37 offset:12608                    // 000000002A18: DBFE3140 0C000025
	ds_read_b128 a[16:19], v37 offset:12672                    // 000000002A20: DBFE3180 10000025
	ds_read_b128 a[20:23], v37 offset:12736                    // 000000002A28: DBFE31C0 14000025
	ds_read_b128 a[24:27], v37 offset:12800                    // 000000002A30: DBFE3200 18000025
	ds_read_b128 a[28:31], v37 offset:12864                    // 000000002A38: DBFE3240 1C000025
	ds_read_b128 a[32:35], v37 offset:12928                    // 000000002A40: DBFE3280 20000025
	s_waitcnt lgkmcnt(0)                                       // 000000002A48: BF8CC07F

0000000000002a4c <label_01D3>:
	s_waitcnt vmcnt(12)                                        // 000000002A4C: BF8C0F7C
	s_barrier                                                  // 000000002A50: BF8A0000
	s_cmp_eq_i32 s7, 2                                         // 000000002A54: BF008207
	s_cbranch_scc0 label_01EA                                  // 000000002A58: BF840013
	ds_read_b128 a[0:3], v37 offset:24832                      // 000000002A5C: DBFE6100 00000025
	ds_read_b128 a[4:7], v37 offset:24896                      // 000000002A64: DBFE6140 04000025
	ds_read_b128 a[8:11], v37 offset:24960                     // 000000002A6C: DBFE6180 08000025
	ds_read_b128 a[12:15], v37 offset:25024                    // 000000002A74: DBFE61C0 0C000025
	ds_read_b128 a[16:19], v37 offset:25088                    // 000000002A7C: DBFE6200 10000025
	ds_read_b128 a[20:23], v37 offset:25152                    // 000000002A84: DBFE6240 14000025
	ds_read_b128 a[24:27], v37 offset:25216                    // 000000002A8C: DBFE6280 18000025
	ds_read_b128 a[28:31], v37 offset:25280                    // 000000002A94: DBFE62C0 1C000025
	ds_read_b128 a[32:35], v37 offset:25344                    // 000000002A9C: DBFE6300 20000025
	s_waitcnt lgkmcnt(0)                                       // 000000002AA4: BF8CC07F

0000000000002aa8 <label_01EA>:
	s_waitcnt vmcnt(0)                                         // 000000002AA8: BF8C0F70
	s_barrier                                                  // 000000002AAC: BF8A0000
	s_cmp_eq_i32 s7, 3                                         // 000000002AB0: BF008307
	s_cbranch_scc0 label_0201                                  // 000000002AB4: BF840013
	ds_read_b128 a[0:3], v37                                   // 000000002AB8: DBFE0000 00000025
	ds_read_b128 a[4:7], v37 offset:64                         // 000000002AC0: DBFE0040 04000025
	ds_read_b128 a[8:11], v37 offset:128                       // 000000002AC8: DBFE0080 08000025
	ds_read_b128 a[12:15], v37 offset:192                      // 000000002AD0: DBFE00C0 0C000025
	ds_read_b128 a[16:19], v37 offset:256                      // 000000002AD8: DBFE0100 10000025
	ds_read_b128 a[20:23], v37 offset:320                      // 000000002AE0: DBFE0140 14000025
	ds_read_b128 a[24:27], v37 offset:384                      // 000000002AE8: DBFE0180 18000025
	ds_read_b128 a[28:31], v37 offset:448                      // 000000002AF0: DBFE01C0 1C000025
	ds_read_b128 a[32:35], v37 offset:512                      // 000000002AF8: DBFE0200 20000025
	s_waitcnt lgkmcnt(0)                                       // 000000002B00: BF8CC07F

0000000000002b04 <label_0201>:
	s_waitcnt vmcnt(0)                                         // 000000002B04: BF8C0F70
	s_barrier                                                  // 000000002B08: BF8A0000
	s_mov_b32 s51, 0x7060302                                   // 000000002B0C: BEB300FF 07060302
	s_mov_b32 s52, 0x6020400                                   // 000000002B14: BEB400FF 06020400
	s_mov_b32 s53, 0x7030501                                   // 000000002B1C: BEB500FF 07030501
	s_mov_b32 s54, 0x5010400                                   // 000000002B24: BEB600FF 05010400
	s_mov_b32 s55, 0x7030602                                   // 000000002B2C: BEB700FF 07030602
	s_mov_b32 s6, 0x3fb8aa3b                                   // 000000002B34: BE8600FF 3FB8AA3B
	v_mov_b32_e32 v21, s6                                      // 000000002B3C: 7E2A0206
	v_mov_b32_e32 v20, s64                                     // 000000002B40: 7E280240
	v_mul_f32_e32 v20, s6, v20                                 // 000000002B44: 0A282806
	v_rcp_f32_e32 v21, v21                                     // 000000002B48: 7E2A4515
	v_mov_b32_e32 v12, 0xff7fffff                              // 000000002B4C: 7E1802FF FF7FFFFF
	v_mov_b32_e32 v13, 0xff7fffff                              // 000000002B54: 7E1A02FF FF7FFFFF
	v_mov_b32_e32 v16, 0                                       // 000000002B5C: 7E200280
	v_mov_b32_e32 v17, 0                                       // 000000002B60: 7E220280
	v_mov_b32_e32 v14, 0                                       // 000000002B64: 7E1C0280
	v_mov_b32_e32 v15, 0                                       // 000000002B68: 7E1E0280
	v_mov_b32_e32 v9, s68                                      // 000000002B6C: 7E120244
	v_readfirstlane_b32 s5, v20                                // 000000002B70: 7E0A0514
	v_readfirstlane_b32 s63, v21                               // 000000002B74: 7E7E0515
	v_mov_b32_e32 v20, s42                                     // 000000002B78: 7E28022A
	v_mul_f32_e32 v20, s43, v20                                // 000000002B7C: 0A28282B
	v_mul_f32_e32 v21, s5, v20                                 // 000000002B80: 0A2A2805
	v_mul_f32_e32 v23, s64, v20                                // 000000002B84: 0A2E2840
	v_readfirstlane_b32 s5, v21                                // 000000002B88: 7E0A0515
	v_readfirstlane_b32 s64, v23                               // 000000002B8C: 7E800517
	v_and_b32_e32 v2, 15, v0                                   // 000000002B90: 2604008F
	v_lshlrev_b32_e32 v2, 2, v2                                // 000000002B94: 24040482
	s_mul_i32 s56, 0x100, s7                                   // 000000002B98: 923807FF 00000100
	v_add_u32_e32 v2, s56, v2                                  // 000000002BA0: 68040438
	v_lshlrev_b32_e32 v3, 2, v0                                // 000000002BA4: 24060082
	s_mul_i32 s56, 0x100, s7                                   // 000000002BA8: 923807FF 00000100
	v_add_u32_e32 v3, s56, v3                                  // 000000002BB0: 68060638
	v_and_b32_e32 v20, 15, v0                                  // 000000002BB4: 2628008F
	v_lshlrev_b32_e32 v1, 2, v20                               // 000000002BB8: 24022882
	s_mul_i32 s34, s7, 0x1220                                  // 000000002BBC: 9222FF07 00001220
	s_add_u32 s34, 0, s34                                      // 000000002BC4: 80222280
	s_add_u32 s35, 0x900, s34                                  // 000000002BC8: 802322FF 00000900
	s_add_u32 s36, 0x4880, s34                                 // 000000002BD0: 802422FF 00004880
	s_add_u32 s37, 0x4880, s35                                 // 000000002BD8: 802523FF 00004880
	s_waitcnt vmcnt(0)                                         // 000000002BE0: BF8C0F70
	v_mul_u32_u24_dpp v18, v10, v9 row_newbcast:0 row_mask:0xf bank_mask:0xf// 000000002BE4: 102412FA FF01500A
	v_mul_u32_u24_dpp v19, v10, v9 row_newbcast:8 row_mask:0xf bank_mask:0xf// 000000002BEC: 102612FA FF01580A
	v_add_u32_e32 v18, v18, v1                                 // 000000002BF4: 68240312
	v_add_u32_e32 v19, v19, v1                                 // 000000002BF8: 68260313
	s_mov_b32 m0, s34                                          // 000000002BFC: BEFC0022
	buffer_load_dword v18, s[20:23], 0 offen lds               // 000000002C00: E0511000 80050012
	s_add_u32 m0, 0, s35                                       // 000000002C08: 807C2380
	buffer_load_dword v19, s[20:23], 0 offen lds               // 000000002C0C: E0511000 80050013
	s_add_u32 m0, 0xc0, s34                                    // 000000002C14: 807C22FF 000000C0
	buffer_load_dword v18, s[20:23], 0 offen offset:64 lds     // 000000002C1C: E0511040 80050012
	s_add_u32 m0, 0xc0, s35                                    // 000000002C24: 807C23FF 000000C0
	buffer_load_dword v19, s[20:23], 0 offen offset:64 lds     // 000000002C2C: E0511040 80050013
	s_add_u32 m0, 0x180, s34                                   // 000000002C34: 807C22FF 00000180
	buffer_load_dword v18, s[20:23], 0 offen offset:128 lds    // 000000002C3C: E0511080 80050012
	s_add_u32 m0, 0x180, s35                                   // 000000002C44: 807C23FF 00000180
	buffer_load_dword v19, s[20:23], 0 offen offset:128 lds    // 000000002C4C: E0511080 80050013
	s_add_u32 m0, 0x240, s34                                   // 000000002C54: 807C22FF 00000240
	buffer_load_dword v18, s[20:23], 0 offen offset:192 lds    // 000000002C5C: E05110C0 80050012
	s_add_u32 m0, 0x240, s35                                   // 000000002C64: 807C23FF 00000240
	buffer_load_dword v19, s[20:23], 0 offen offset:192 lds    // 000000002C6C: E05110C0 80050013
	s_add_u32 m0, 0x300, s34                                   // 000000002C74: 807C22FF 00000300
	buffer_load_dword v18, s[20:23], 0 offen offset:256 lds    // 000000002C7C: E0511100 80050012
	s_add_u32 m0, 0x300, s35                                   // 000000002C84: 807C23FF 00000300
	buffer_load_dword v19, s[20:23], 0 offen offset:256 lds    // 000000002C8C: E0511100 80050013
	s_add_u32 m0, 0x3c0, s34                                   // 000000002C94: 807C22FF 000003C0
	buffer_load_dword v18, s[20:23], 0 offen offset:320 lds    // 000000002C9C: E0511140 80050012
	s_add_u32 m0, 0x3c0, s35                                   // 000000002CA4: 807C23FF 000003C0
	buffer_load_dword v19, s[20:23], 0 offen offset:320 lds    // 000000002CAC: E0511140 80050013
	s_add_u32 m0, 0x480, s34                                   // 000000002CB4: 807C22FF 00000480
	buffer_load_dword v18, s[20:23], 0 offen offset:384 lds    // 000000002CBC: E0511180 80050012
	s_add_u32 m0, 0x480, s35                                   // 000000002CC4: 807C23FF 00000480
	buffer_load_dword v19, s[20:23], 0 offen offset:384 lds    // 000000002CCC: E0511180 80050013
	s_add_u32 m0, 0x540, s34                                   // 000000002CD4: 807C22FF 00000540
	buffer_load_dword v18, s[20:23], 0 offen offset:448 lds    // 000000002CDC: E05111C0 80050012
	s_add_u32 m0, 0x540, s35                                   // 000000002CE4: 807C23FF 00000540
	buffer_load_dword v19, s[20:23], 0 offen offset:448 lds    // 000000002CEC: E05111C0 80050013
	s_add_u32 m0, 0x600, s34                                   // 000000002CF4: 807C22FF 00000600
	buffer_load_dword v18, s[20:23], 0 offen offset:512 lds    // 000000002CFC: E0511200 80050012
	s_add_u32 m0, 0x600, s35                                   // 000000002D04: 807C23FF 00000600
	buffer_load_dword v19, s[20:23], 0 offen offset:512 lds    // 000000002D0C: E0511200 80050013
	s_add_u32 m0, 0x6c0, s34                                   // 000000002D14: 807C22FF 000006C0
	buffer_load_dword v10, v8, s[24:27], 0 offen               // 000000002D1C: E0501000 80060A08
	v_add_u32_e32 v8, s73, v8                                  // 000000002D24: 68101049
	v_mov_b32_e32 v56, 0                                       // 000000002D28: 7E700280
	v_mov_b32_e32 v57, 0                                       // 000000002D2C: 7E720280
	v_mov_b32_e32 v58, 0                                       // 000000002D30: 7E740280
	v_mov_b32_e32 v59, 0                                       // 000000002D34: 7E760280
	v_mov_b32_e32 v60, 0                                       // 000000002D38: 7E780280
	v_mov_b32_e32 v61, 0                                       // 000000002D3C: 7E7A0280
	v_mov_b32_e32 v62, 0                                       // 000000002D40: 7E7C0280
	v_mov_b32_e32 v63, 0                                       // 000000002D44: 7E7E0280
	v_mov_b32_e32 v64, 0                                       // 000000002D48: 7E800280
	v_mov_b32_e32 v65, 0                                       // 000000002D4C: 7E820280
	v_mov_b32_e32 v66, 0                                       // 000000002D50: 7E840280
	v_mov_b32_e32 v67, 0                                       // 000000002D54: 7E860280
	v_mov_b32_e32 v68, 0                                       // 000000002D58: 7E880280
	v_mov_b32_e32 v69, 0                                       // 000000002D5C: 7E8A0280
	v_mov_b32_e32 v70, 0                                       // 000000002D60: 7E8C0280
	v_mov_b32_e32 v71, 0                                       // 000000002D64: 7E8E0280
	v_mov_b32_e32 v72, 0                                       // 000000002D68: 7E900280
	v_mov_b32_e32 v73, 0                                       // 000000002D6C: 7E920280
	v_mov_b32_e32 v74, 0                                       // 000000002D70: 7E940280
	v_mov_b32_e32 v75, 0                                       // 000000002D74: 7E960280
	v_mov_b32_e32 v76, 0                                       // 000000002D78: 7E980280
	v_mov_b32_e32 v77, 0                                       // 000000002D7C: 7E9A0280
	v_mov_b32_e32 v78, 0                                       // 000000002D80: 7E9C0280
	v_mov_b32_e32 v79, 0                                       // 000000002D84: 7E9E0280
	v_mov_b32_e32 v80, 0                                       // 000000002D88: 7EA00280
	v_mov_b32_e32 v81, 0                                       // 000000002D8C: 7EA20280
	v_mov_b32_e32 v82, 0                                       // 000000002D90: 7EA40280
	v_mov_b32_e32 v83, 0                                       // 000000002D94: 7EA60280
	v_mov_b32_e32 v84, 0                                       // 000000002D98: 7EA80280
	v_mov_b32_e32 v85, 0                                       // 000000002D9C: 7EAA0280
	v_mov_b32_e32 v86, 0                                       // 000000002DA0: 7EAC0280
	v_mov_b32_e32 v87, 0                                       // 000000002DA4: 7EAE0280
	v_mov_b32_e32 v88, 0                                       // 000000002DA8: 7EB00280
	v_mov_b32_e32 v89, 0                                       // 000000002DAC: 7EB20280
	v_mov_b32_e32 v90, 0                                       // 000000002DB0: 7EB40280
	v_mov_b32_e32 v91, 0                                       // 000000002DB4: 7EB60280
	v_mov_b32_e32 v92, 0                                       // 000000002DB8: 7EB80280
	v_mov_b32_e32 v93, 0                                       // 000000002DBC: 7EBA0280
	v_mov_b32_e32 v94, 0                                       // 000000002DC0: 7EBC0280
	v_mov_b32_e32 v95, 0                                       // 000000002DC4: 7EBE0280
	v_mov_b32_e32 v96, 0                                       // 000000002DC8: 7EC00280
	v_mov_b32_e32 v97, 0                                       // 000000002DCC: 7EC20280
	v_mov_b32_e32 v98, 0                                       // 000000002DD0: 7EC40280
	v_mov_b32_e32 v99, 0                                       // 000000002DD4: 7EC60280
	v_mov_b32_e32 v100, 0                                      // 000000002DD8: 7EC80280
	v_mov_b32_e32 v101, 0                                      // 000000002DDC: 7ECA0280
	v_mov_b32_e32 v102, 0                                      // 000000002DE0: 7ECC0280
	v_mov_b32_e32 v103, 0                                      // 000000002DE4: 7ECE0280
	v_mov_b32_e32 v104, 0                                      // 000000002DE8: 7ED00280
	v_mov_b32_e32 v105, 0                                      // 000000002DEC: 7ED20280
	v_mov_b32_e32 v106, 0                                      // 000000002DF0: 7ED40280
	v_mov_b32_e32 v107, 0                                      // 000000002DF4: 7ED60280
	v_mov_b32_e32 v108, 0                                      // 000000002DF8: 7ED80280
	v_mov_b32_e32 v109, 0                                      // 000000002DFC: 7EDA0280
	v_mov_b32_e32 v110, 0                                      // 000000002E00: 7EDC0280
	v_mov_b32_e32 v111, 0                                      // 000000002E04: 7EDE0280
	v_mov_b32_e32 v112, 0                                      // 000000002E08: 7EE00280
	v_mov_b32_e32 v113, 0                                      // 000000002E0C: 7EE20280
	v_mov_b32_e32 v114, 0                                      // 000000002E10: 7EE40280
	v_mov_b32_e32 v115, 0                                      // 000000002E14: 7EE60280
	v_mov_b32_e32 v116, 0                                      // 000000002E18: 7EE80280
	v_mov_b32_e32 v117, 0                                      // 000000002E1C: 7EEA0280
	v_mov_b32_e32 v118, 0                                      // 000000002E20: 7EEC0280
	v_mov_b32_e32 v119, 0                                      // 000000002E24: 7EEE0280
	v_mov_b32_e32 v120, 0                                      // 000000002E28: 7EF00280
	v_mov_b32_e32 v121, 0                                      // 000000002E2C: 7EF20280
	v_mov_b32_e32 v122, 0                                      // 000000002E30: 7EF40280
	v_mov_b32_e32 v123, 0                                      // 000000002E34: 7EF60280
	v_mov_b32_e32 v124, 0                                      // 000000002E38: 7EF80280
	v_mov_b32_e32 v125, 0                                      // 000000002E3C: 7EFA0280
	v_mov_b32_e32 v126, 0                                      // 000000002E40: 7EFC0280
	v_mov_b32_e32 v127, 0                                      // 000000002E44: 7EFE0280
	v_mov_b32_e32 v128, 0                                      // 000000002E48: 7F000280
	v_mov_b32_e32 v129, 0                                      // 000000002E4C: 7F020280
	v_mov_b32_e32 v130, 0                                      // 000000002E50: 7F040280
	v_mov_b32_e32 v131, 0                                      // 000000002E54: 7F060280
	v_mov_b32_e32 v132, 0                                      // 000000002E58: 7F080280
	v_mov_b32_e32 v133, 0                                      // 000000002E5C: 7F0A0280
	v_mov_b32_e32 v134, 0                                      // 000000002E60: 7F0C0280
	v_mov_b32_e32 v135, 0                                      // 000000002E64: 7F0E0280
	v_mov_b32_e32 v136, 0                                      // 000000002E68: 7F100280
	v_mov_b32_e32 v137, 0                                      // 000000002E6C: 7F120280
	v_mov_b32_e32 v138, 0                                      // 000000002E70: 7F140280
	v_mov_b32_e32 v139, 0                                      // 000000002E74: 7F160280
	v_mov_b32_e32 v140, 0                                      // 000000002E78: 7F180280
	v_mov_b32_e32 v141, 0                                      // 000000002E7C: 7F1A0280
	v_mov_b32_e32 v142, 0                                      // 000000002E80: 7F1C0280
	v_mov_b32_e32 v143, 0                                      // 000000002E84: 7F1E0280
	v_mov_b32_e32 v144, 0                                      // 000000002E88: 7F200280
	v_mov_b32_e32 v145, 0                                      // 000000002E8C: 7F220280
	v_mov_b32_e32 v146, 0                                      // 000000002E90: 7F240280
	v_mov_b32_e32 v147, 0                                      // 000000002E94: 7F260280
	v_mov_b32_e32 v148, 0                                      // 000000002E98: 7F280280
	v_mov_b32_e32 v149, 0                                      // 000000002E9C: 7F2A0280
	v_mov_b32_e32 v150, 0                                      // 000000002EA0: 7F2C0280
	v_mov_b32_e32 v151, 0                                      // 000000002EA4: 7F2E0280
	v_mov_b32_e32 v152, 0                                      // 000000002EA8: 7F300280
	v_mov_b32_e32 v153, 0                                      // 000000002EAC: 7F320280
	v_mov_b32_e32 v154, 0                                      // 000000002EB0: 7F340280
	v_mov_b32_e32 v155, 0                                      // 000000002EB4: 7F360280
	v_mov_b32_e32 v156, 0                                      // 000000002EB8: 7F380280
	v_mov_b32_e32 v157, 0                                      // 000000002EBC: 7F3A0280
	v_mov_b32_e32 v158, 0                                      // 000000002EC0: 7F3C0280
	v_mov_b32_e32 v159, 0                                      // 000000002EC4: 7F3E0280
	v_mov_b32_e32 v160, 0                                      // 000000002EC8: 7F400280
	v_mov_b32_e32 v161, 0                                      // 000000002ECC: 7F420280
	v_mov_b32_e32 v162, 0                                      // 000000002ED0: 7F440280
	v_mov_b32_e32 v163, 0                                      // 000000002ED4: 7F460280
	v_mov_b32_e32 v164, 0                                      // 000000002ED8: 7F480280
	v_mov_b32_e32 v165, 0                                      // 000000002EDC: 7F4A0280
	v_mov_b32_e32 v166, 0                                      // 000000002EE0: 7F4C0280
	v_mov_b32_e32 v167, 0                                      // 000000002EE4: 7F4E0280
	v_mov_b32_e32 v168, 0                                      // 000000002EE8: 7F500280
	v_mov_b32_e32 v169, 0                                      // 000000002EEC: 7F520280
	v_mov_b32_e32 v170, 0                                      // 000000002EF0: 7F540280
	v_mov_b32_e32 v171, 0                                      // 000000002EF4: 7F560280
	v_mov_b32_e32 v172, 0                                      // 000000002EF8: 7F580280
	v_mov_b32_e32 v173, 0                                      // 000000002EFC: 7F5A0280
	v_mov_b32_e32 v174, 0                                      // 000000002F00: 7F5C0280
	v_mov_b32_e32 v175, 0                                      // 000000002F04: 7F5E0280
	v_mov_b32_e32 v176, 0                                      // 000000002F08: 7F600280
	v_mov_b32_e32 v177, 0                                      // 000000002F0C: 7F620280
	v_mov_b32_e32 v178, 0                                      // 000000002F10: 7F640280
	v_mov_b32_e32 v179, 0                                      // 000000002F14: 7F660280
	v_mov_b32_e32 v180, 0                                      // 000000002F18: 7F680280
	v_mov_b32_e32 v181, 0                                      // 000000002F1C: 7F6A0280
	v_mov_b32_e32 v182, 0                                      // 000000002F20: 7F6C0280
	v_mov_b32_e32 v183, 0                                      // 000000002F24: 7F6E0280
	v_lshrrev_b32_e32 v20, 4, v0                               // 000000002F28: 20280084
	v_mul_i32_i24_e32 v21, 4, v20                              // 000000002F2C: 0C2A2884
	v_and_b32_e32 v20, 15, v0                                  // 000000002F30: 2628008F
	v_and_b32_e32 v22, 3, v20                                  // 000000002F34: 262C2883
	v_mul_i32_i24_e32 v22, 0x488, v22                          // 000000002F38: 0C2C2CFF 00000488
	v_add_u32_e32 v4, v22, v21                                 // 000000002F40: 68082B16
	v_lshrrev_b32_e32 v20, 2, v20                              // 000000002F44: 20282882
	v_and_b32_e32 v21, 1, v20                                  // 000000002F48: 262A2881
	v_mul_i32_i24_e32 v21, 16, v21                             // 000000002F4C: 0C2A2A90
	v_add_u32_e32 v4, v4, v21                                  // 000000002F50: 68082B04
	v_and_b32_e32 v21, 2, v20                                  // 000000002F54: 262A2882
	v_mul_i32_i24_e32 v21, 0x120, v21                          // 000000002F58: 0C2A2AFF 00000120
	v_add_u32_e32 v4, v4, v21                                  // 000000002F60: 68082B04
	v_lshlrev_b32_e32 v4, 2, v4                                // 000000002F64: 24080882
	v_lshrrev_b32_e32 v20, 5, v0                               // 000000002F68: 20280085
	v_mul_i32_i24_e32 v5, 0x240, v20                           // 000000002F6C: 0C0A28FF 00000240
	v_and_b32_e32 v20, 31, v0                                  // 000000002F74: 2628009F
	v_add_u32_e32 v5, v20, v5                                  // 000000002F78: 680A0B14
	s_mul_i32 s56, 64, s7                                      // 000000002F7C: 923807C0
	v_add_u32_e64 v5, v5, s56                                  // 000000002F80: D1340005 00007105
	v_lshlrev_b32_e32 v5, 2, v5                                // 000000002F88: 240A0A82
	v_lshlrev_b32_e32 v6, 2, v0                                // 000000002F8C: 240C0082
	s_mul_i32 s56, 0x200, s7                                   // 000000002F90: 923807FF 00000200
	v_add_u32_e64 v6, v6, s56                                  // 000000002F98: D1340006 00007106
	v_lshlrev_b32_e32 v6, 2, v6                                // 000000002FA0: 240C0C82
	v_lshlrev_b32_e32 v7, 4, v0                                // 000000002FA4: 240E0084
	v_mul_u32_u24_dpp v18, v11, v9 row_newbcast:0 row_mask:0xf bank_mask:0xf// 000000002FA8: 102412FA FF01500B
	v_mul_u32_u24_dpp v19, v11, v9 row_newbcast:8 row_mask:0xf bank_mask:0xf// 000000002FB0: 102612FA FF01580B
	v_add_u32_e32 v18, v18, v1                                 // 000000002FB8: 68240312
	v_add_u32_e32 v19, v19, v1                                 // 000000002FBC: 68260313
	s_mov_b32 m0, s36                                          // 000000002FC0: BEFC0024
	buffer_load_dword v11, v8, s[24:27], 0 offen               // 000000002FC4: E0501000 80060B08
	v_add_u32_e32 v8, s73, v8                                  // 000000002FCC: 68101049
	buffer_load_dword v18, s[20:23], 0 offen lds               // 000000002FD0: E0511000 80050012
	s_add_u32 m0, 0, s37                                       // 000000002FD8: 807C2580
	buffer_load_dword v19, s[20:23], 0 offen lds               // 000000002FDC: E0511000 80050013
	s_add_u32 m0, 0xc0, s36                                    // 000000002FE4: 807C24FF 000000C0
	buffer_load_dword v18, s[20:23], 0 offen offset:64 lds     // 000000002FEC: E0511040 80050012
	s_add_u32 m0, 0xc0, s37                                    // 000000002FF4: 807C25FF 000000C0
	buffer_load_dword v19, s[20:23], 0 offen offset:64 lds     // 000000002FFC: E0511040 80050013
	s_add_u32 m0, 0x180, s36                                   // 000000003004: 807C24FF 00000180
	buffer_load_dword v18, s[20:23], 0 offen offset:128 lds    // 00000000300C: E0511080 80050012
	s_add_u32 m0, 0x180, s37                                   // 000000003014: 807C25FF 00000180
	buffer_load_dword v19, s[20:23], 0 offen offset:128 lds    // 00000000301C: E0511080 80050013
	s_add_u32 m0, 0x240, s36                                   // 000000003024: 807C24FF 00000240
	buffer_load_dword v18, s[20:23], 0 offen offset:192 lds    // 00000000302C: E05110C0 80050012
	s_add_u32 m0, 0x240, s37                                   // 000000003034: 807C25FF 00000240
	buffer_load_dword v19, s[20:23], 0 offen offset:192 lds    // 00000000303C: E05110C0 80050013
	s_add_u32 m0, 0x300, s36                                   // 000000003044: 807C24FF 00000300
	buffer_load_dword v18, s[20:23], 0 offen offset:256 lds    // 00000000304C: E0511100 80050012
	s_add_u32 m0, 0x300, s37                                   // 000000003054: 807C25FF 00000300
	buffer_load_dword v19, s[20:23], 0 offen offset:256 lds    // 00000000305C: E0511100 80050013
	s_add_u32 m0, 0x3c0, s36                                   // 000000003064: 807C24FF 000003C0
	buffer_load_dword v18, s[20:23], 0 offen offset:320 lds    // 00000000306C: E0511140 80050012
	s_add_u32 m0, 0x3c0, s37                                   // 000000003074: 807C25FF 000003C0
	buffer_load_dword v19, s[20:23], 0 offen offset:320 lds    // 00000000307C: E0511140 80050013
	s_add_u32 m0, 0x480, s36                                   // 000000003084: 807C24FF 00000480
	buffer_load_dword v18, s[20:23], 0 offen offset:384 lds    // 00000000308C: E0511180 80050012
	s_add_u32 m0, 0x480, s37                                   // 000000003094: 807C25FF 00000480
	buffer_load_dword v19, s[20:23], 0 offen offset:384 lds    // 00000000309C: E0511180 80050013
	s_add_u32 m0, 0x540, s36                                   // 0000000030A4: 807C24FF 00000540
	buffer_load_dword v18, s[20:23], 0 offen offset:448 lds    // 0000000030AC: E05111C0 80050012
	s_add_u32 m0, 0x540, s37                                   // 0000000030B4: 807C25FF 00000540
	buffer_load_dword v19, s[20:23], 0 offen offset:448 lds    // 0000000030BC: E05111C0 80050013
	s_add_u32 m0, 0x600, s36                                   // 0000000030C4: 807C24FF 00000600
	buffer_load_dword v18, s[20:23], 0 offen offset:512 lds    // 0000000030CC: E0511200 80050012
	s_add_u32 m0, 0x600, s37                                   // 0000000030D4: 807C25FF 00000600
	buffer_load_dword v19, s[20:23], 0 offen offset:512 lds    // 0000000030DC: E0511200 80050013
	s_add_u32 m0, 0x6c0, s36                                   // 0000000030E4: 807C24FF 000006C0
	s_waitcnt vmcnt(19) lgkmcnt(0)                             // 0000000030EC: BF8C4073
	s_barrier                                                  // 0000000030F0: BF8A0000
	v_mul_u32_u24_dpp v18, v10, v9 row_newbcast:0 row_mask:0xf bank_mask:0xf// 0000000030F4: 102412FA FF01500A
	v_mul_u32_u24_dpp v19, v10, v9 row_newbcast:8 row_mask:0xf bank_mask:0xf// 0000000030FC: 102612FA FF01580A
	v_add_u32_e32 v18, v18, v1                                 // 000000003104: 68240312
	v_add_u32_e32 v19, v19, v1                                 // 000000003108: 68260313
	s_mov_b32 m0, s34                                          // 00000000310C: BEFC0022
	ds_read_b32 v20, v5                                        // 000000003110: D86C0000 14000005
	ds_read_b32 v21, v5 offset:4640                            // 000000003118: D86C1220 15000005
	ds_read_b32 v22, v5 offset:9280                            // 000000003120: D86C2440 16000005
	ds_read_b32 v23, v5 offset:13920                           // 000000003128: D86C3660 17000005
	ds_read_b32 v24, v5 offset:128                             // 000000003130: D86C0080 18000005
	ds_read_b32 v25, v5 offset:4768                            // 000000003138: D86C12A0 19000005
	ds_read_b32 v26, v5 offset:9408                            // 000000003140: D86C24C0 1A000005
	ds_read_b32 v27, v5 offset:14048                           // 000000003148: D86C36E0 1B000005
	s_waitcnt lgkmcnt(0)                                       // 000000003150: BF8CC07F
	v_perm_b32 v32, v22, v20, s52                              // 000000003154: D1ED0020 00D22916
	v_perm_b32 v33, v22, v20, s53                              // 00000000315C: D1ED0021 00D62916
	v_perm_b32 v34, v23, v21, s52                              // 000000003164: D1ED0022 00D22B17
	v_perm_b32 v35, v23, v21, s53                              // 00000000316C: D1ED0023 00D62B17
	v_perm_b32 v28, v34, v32, s54                              // 000000003174: D1ED001C 00DA4122
	v_perm_b32 v36, v34, v32, s55                              // 00000000317C: D1ED0024 00DE4122
	v_perm_b32 v30, v35, v33, s54                              // 000000003184: D1ED001E 00DA4323
	v_perm_b32 v38, v35, v33, s55                              // 00000000318C: D1ED0026 00DE4323
	v_perm_b32 v32, v26, v24, s52                              // 000000003194: D1ED0020 00D2311A
	v_perm_b32 v33, v26, v24, s53                              // 00000000319C: D1ED0021 00D6311A
	v_perm_b32 v34, v27, v25, s52                              // 0000000031A4: D1ED0022 00D2331B
	v_perm_b32 v35, v27, v25, s53                              // 0000000031AC: D1ED0023 00D6331B
	v_perm_b32 v29, v34, v32, s54                              // 0000000031B4: D1ED001D 00DA4122
	v_perm_b32 v37, v34, v32, s55                              // 0000000031BC: D1ED0025 00DE4122
	v_perm_b32 v31, v35, v33, s54                              // 0000000031C4: D1ED001F 00DA4323
	v_perm_b32 v39, v35, v33, s55                              // 0000000031CC: D1ED0027 00DE4323
	ds_write_b128 v6, v[28:31] offset:37120                    // 0000000031D4: D9BE9100 00001C06
	ds_write_b128 v6, v[36:39] offset:38144                    // 0000000031DC: D9BE9500 00002406
	ds_read_b32 v20, v5 offset:1024                            // 0000000031E4: D86C0400 14000005
	ds_read_b32 v21, v5 offset:5664                            // 0000000031EC: D86C1620 15000005
	ds_read_b32 v22, v5 offset:10304                           // 0000000031F4: D86C2840 16000005
	ds_read_b32 v23, v5 offset:14944                           // 0000000031FC: D86C3A60 17000005
	ds_read_b32 v24, v5 offset:1152                            // 000000003204: D86C0480 18000005
	ds_read_b32 v25, v5 offset:5792                            // 00000000320C: D86C16A0 19000005
	ds_read_b32 v26, v5 offset:10432                           // 000000003214: D86C28C0 1A000005
	ds_read_b32 v27, v5 offset:15072                           // 00000000321C: D86C3AE0 1B000005
	ds_read_b128 a[72:75], v4                                  // 000000003224: DBFE0000 48000004
	ds_read_b128 a[76:79], v4 offset:256                       // 00000000322C: DBFE0100 4C000004
	ds_read_b128 a[80:83], v4 offset:512                       // 000000003234: DBFE0200 50000004
	ds_read_b128 a[84:87], v4 offset:768                       // 00000000323C: DBFE0300 54000004
	ds_read_b128 a[88:91], v4 offset:1024                      // 000000003244: DBFE0400 58000004
	ds_read_b128 a[92:95], v4 offset:1280                      // 00000000324C: DBFE0500 5C000004
	ds_read_b128 a[96:99], v4 offset:1536                      // 000000003254: DBFE0600 60000004
	ds_read_b128 a[100:103], v4 offset:1792                    // 00000000325C: DBFE0700 64000004
	s_nop 0                                                    // 000000003264: BF800000
	s_nop 0                                                    // 000000003268: BF800000
	s_cmp_lt_u32 s71, 1                                        // 00000000326C: BF0A8147
	s_cbranch_scc1 label_0E6D                                  // 000000003270: BF850A90
	s_cmp_lt_i32 s7, 2                                         // 000000003274: BF048207
	s_cbranch_scc0 label_0926                                  // 000000003278: BF840547

000000000000327c <label_03DF>:
	s_waitcnt lgkmcnt(6)                                       // 00000000327C: BF8CC67F
	v_mfma_f32_16x16x32_fp8_fp8 v[40:43], a[72:73], a[0:1], 0  // 000000003280: D3F30028 1A020148
	ds_read_b128 a[104:107], v4 offset:2048                    // 000000003288: DBFE0800 68000004
	ds_read_b128 a[108:111], v4 offset:128                     // 000000003290: DBFE0080 6C000004
	v_mfma_f32_16x16x32_fp8_fp8 v[40:43], a[74:75], a[2:3], v[40:43]// 000000003298: D3F30028 1CA2054A
	buffer_load_dword v10, v8, s[24:27], 0 offen               // 0000000032A0: E0501000 80060A08
	v_mfma_f32_16x16x32_fp8_fp8 v[40:43], a[76:77], a[4:5], v[40:43]// 0000000032A8: D3F30028 1CA2094C
	v_mfma_f32_16x16x32_fp8_fp8 v[40:43], a[78:79], a[6:7], v[40:43]// 0000000032B0: D3F30028 1CA20D4E
	v_mfma_f32_16x16x32_fp8_fp8 v[40:43], a[80:81], a[8:9], v[40:43]// 0000000032B8: D3F30028 1CA21150
	ds_read_b128 a[112:115], v4 offset:384                     // 0000000032C0: DBFE0180 70000004
	ds_read_b128 a[116:119], v4 offset:640                     // 0000000032C8: DBFE0280 74000004
	v_mfma_f32_16x16x32_fp8_fp8 v[40:43], a[82:83], a[10:11], v[40:43]// 0000000032D0: D3F30028 1CA21552
	v_mfma_f32_16x16x32_fp8_fp8 v[40:43], a[84:85], a[12:13], v[40:43]// 0000000032D8: D3F30028 1CA21954
	v_mfma_f32_16x16x32_fp8_fp8 v[40:43], a[86:87], a[14:15], v[40:43]// 0000000032E0: D3F30028 1CA21D56
	s_waitcnt lgkmcnt(6)                                       // 0000000032E8: BF8CC67F
	v_mfma_f32_16x16x32_fp8_fp8 v[40:43], a[88:89], a[16:17], v[40:43]// 0000000032EC: D3F30028 1CA22158
	ds_read_b128 a[120:123], v4 offset:896                     // 0000000032F4: DBFE0380 78000004
	ds_read_b128 a[124:127], v4 offset:1152                    // 0000000032FC: DBFE0480 7C000004
	v_mfma_f32_16x16x32_fp8_fp8 v[40:43], a[90:91], a[18:19], v[40:43]// 000000003304: D3F30028 1CA2255A
	v_mfma_f32_16x16x32_fp8_fp8 v[40:43], a[92:93], a[20:21], v[40:43]// 00000000330C: D3F30028 1CA2295C
	v_mfma_f32_16x16x32_fp8_fp8 v[40:43], a[94:95], a[22:23], v[40:43]// 000000003314: D3F30028 1CA22D5E
	v_mfma_f32_16x16x32_fp8_fp8 v[40:43], a[96:97], a[24:25], v[40:43]// 00000000331C: D3F30028 1CA23160
	ds_read_b128 a[128:131], v4 offset:1408                    // 000000003324: DBFE0580 80000004
	ds_read_b128 a[132:135], v4 offset:1664                    // 00000000332C: DBFE0680 84000004
	v_mfma_f32_16x16x32_fp8_fp8 v[40:43], a[98:99], a[26:27], v[40:43]// 000000003334: D3F30028 1CA23562
	v_mfma_f32_16x16x32_fp8_fp8 v[40:43], a[100:101], a[28:29], v[40:43]// 00000000333C: D3F30028 1CA23964
	v_mfma_f32_16x16x32_fp8_fp8 v[40:43], a[102:103], a[30:31], v[40:43]// 000000003344: D3F30028 1CA23D66
	s_waitcnt lgkmcnt(6)                                       // 00000000334C: BF8CC67F
	s_barrier                                                  // 000000003350: BF8A0000
	v_mfma_f32_16x16x32_fp8_fp8 v[40:43], a[104:105], a[32:33], v[40:43]// 000000003354: D3F30028 1CA24168
	ds_read_b128 a[136:139], v4 offset:1920                    // 00000000335C: DBFE0780 88000004
	ds_read_b128 a[140:143], v4 offset:2176                    // 000000003364: DBFE0880 8C000004
	v_mfma_f32_16x16x32_fp8_fp8 v[40:43], a[106:107], a[34:35], v[40:43]// 00000000336C: D3F30028 1CA2456A
	v_mfma_f32_16x16x32_fp8_fp8 v[44:47], a[108:109], a[0:1], 0// 000000003374: D3F3002C 1A02016C
	v_perm_b32 v32, v22, v20, s52                              // 00000000337C: D1ED0020 00D22916
	v_perm_b32 v33, v22, v20, s53                              // 000000003384: D1ED0021 00D62916
	v_perm_b32 v34, v23, v21, s52                              // 00000000338C: D1ED0022 00D22B17
	v_perm_b32 v35, v23, v21, s53                              // 000000003394: D1ED0023 00D62B17
	v_perm_b32 v28, v34, v32, s54                              // 00000000339C: D1ED001C 00DA4122
	v_perm_b32 v36, v34, v32, s55                              // 0000000033A4: D1ED0024 00DE4122
	v_perm_b32 v30, v35, v33, s54                              // 0000000033AC: D1ED001E 00DA4323
	v_perm_b32 v38, v35, v33, s55                              // 0000000033B4: D1ED0026 00DE4323
	v_mfma_f32_16x16x32_fp8_fp8 v[44:47], a[110:111], a[2:3], v[44:47]// 0000000033BC: D3F3002C 1CB2056E
	buffer_load_dword v18, s[20:23], 0 offen lds               // 0000000033C4: E0511000 80050012
	s_add_u32 m0, 0, s35                                       // 0000000033CC: 807C2380
	v_mfma_f32_16x16x32_fp8_fp8 v[44:47], a[112:113], a[4:5], v[44:47]// 0000000033D0: D3F3002C 1CB20970
	v_perm_b32 v32, v26, v24, s52                              // 0000000033D8: D1ED0020 00D2311A
	v_perm_b32 v33, v26, v24, s53                              // 0000000033E0: D1ED0021 00D6311A
	v_perm_b32 v34, v27, v25, s52                              // 0000000033E8: D1ED0022 00D2331B
	v_perm_b32 v35, v27, v25, s53                              // 0000000033F0: D1ED0023 00D6331B
	v_perm_b32 v29, v34, v32, s54                              // 0000000033F8: D1ED001D 00DA4122
	v_perm_b32 v37, v34, v32, s55                              // 000000003400: D1ED0025 00DE4122
	v_perm_b32 v31, v35, v33, s54                              // 000000003408: D1ED001F 00DA4323
	v_perm_b32 v39, v35, v33, s55                              // 000000003410: D1ED0027 00DE4323
	v_mfma_f32_16x16x32_fp8_fp8 v[44:47], a[114:115], a[6:7], v[44:47]// 000000003418: D3F3002C 1CB20D72
	buffer_load_dword v19, s[20:23], 0 offen lds               // 000000003420: E0511000 80050013
	s_add_u32 m0, 0xc0, s34                                    // 000000003428: 807C22FF 000000C0
	v_mfma_f32_16x16x32_fp8_fp8 v[44:47], a[116:117], a[8:9], v[44:47]// 000000003430: D3F3002C 1CB21174
	ds_write_b128 v6, v[28:31] offset:45312                    // 000000003438: D9BEB100 00001C06
	v_mfma_f32_16x16x32_fp8_fp8 v[44:47], a[118:119], a[10:11], v[44:47]// 000000003440: D3F3002C 1CB21576
	buffer_load_dword v18, s[20:23], 0 offen offset:64 lds     // 000000003448: E0511040 80050012
	s_add_u32 m0, 0xc0, s35                                    // 000000003450: 807C23FF 000000C0
	s_waitcnt lgkmcnt(1)                                       // 000000003458: BF8CC17F
	v_mfma_f32_16x16x32_fp8_fp8 v[44:47], a[120:121], a[12:13], v[44:47]// 00000000345C: D3F3002C 1CB21978
	v_mfma_f32_16x16x32_fp8_fp8 v[44:47], a[122:123], a[14:15], v[44:47]// 000000003464: D3F3002C 1CB21D7A
	buffer_load_dword v19, s[20:23], 0 offen offset:64 lds     // 00000000346C: E0511040 80050013
	s_add_u32 m0, 0x180, s34                                   // 000000003474: 807C22FF 00000180
	v_mfma_f32_16x16x32_fp8_fp8 v[44:47], a[124:125], a[16:17], v[44:47]// 00000000347C: D3F3002C 1CB2217C
	v_mfma_f32_16x16x32_fp8_fp8 v[44:47], a[126:127], a[18:19], v[44:47]// 000000003484: D3F3002C 1CB2257E
	buffer_load_dword v18, s[20:23], 0 offen offset:128 lds    // 00000000348C: E0511080 80050012
	s_add_u32 m0, 0x180, s35                                   // 000000003494: 807C23FF 00000180
	v_mfma_f32_16x16x32_fp8_fp8 v[44:47], a[128:129], a[20:21], v[44:47]// 00000000349C: D3F3002C 1CB22980
	v_mfma_f32_16x16x32_fp8_fp8 v[44:47], a[130:131], a[22:23], v[44:47]// 0000000034A4: D3F3002C 1CB22D82
	buffer_load_dword v19, s[20:23], 0 offen offset:128 lds    // 0000000034AC: E0511080 80050013
	s_add_u32 m0, 0x240, s34                                   // 0000000034B4: 807C22FF 00000240
	v_mfma_f32_16x16x32_fp8_fp8 v[44:47], a[132:133], a[24:25], v[44:47]// 0000000034BC: D3F3002C 1CB23184
	ds_write_b128 v6, v[36:39] offset:46336                    // 0000000034C4: D9BEB500 00002406
	v_mfma_f32_16x16x32_fp8_fp8 v[44:47], a[134:135], a[26:27], v[44:47]// 0000000034CC: D3F3002C 1CB23586
	buffer_load_dword v18, s[20:23], 0 offen offset:192 lds    // 0000000034D4: E05110C0 80050012
	s_add_u32 m0, 0x240, s35                                   // 0000000034DC: 807C23FF 00000240
	v_mfma_f32_16x16x32_fp8_fp8 v[44:47], a[136:137], a[28:29], v[44:47]// 0000000034E4: D3F3002C 1CB23988
	v_mfma_f32_16x16x32_fp8_fp8 v[44:47], a[138:139], a[30:31], v[44:47]// 0000000034EC: D3F3002C 1CB23D8A
	buffer_load_dword v19, s[20:23], 0 offen offset:192 lds    // 0000000034F4: E05110C0 80050013
	s_add_u32 m0, 0x300, s34                                   // 0000000034FC: 807C22FF 00000300
	v_mfma_f32_16x16x32_fp8_fp8 v[44:47], a[140:141], a[32:33], v[44:47]// 000000003504: D3F3002C 1CB2418C
	v_mfma_f32_16x16x32_fp8_fp8 v[44:47], a[142:143], a[34:35], v[44:47]// 00000000350C: D3F3002C 1CB2458E
	buffer_load_dword v18, s[20:23], 0 offen offset:256 lds    // 000000003514: E0511100 80050012
	s_add_u32 m0, 0x300, s35                                   // 00000000351C: 807C23FF 00000300
	v_add_u32_e32 v8, s73, v8                                  // 000000003524: 68101049
	s_cmp_le_i32 s83, s82                                      // 000000003528: BF055253
	s_cbranch_scc1 label_04C8                                  // 00000000352C: BF85003C
	v_mov_b32_e32 v25, 0xff800000                              // 000000003530: 7E3202FF FF800000
	s_add_u32 s57, s82, 0                                      // 000000003538: 80398052
	v_mov_b32_e32 v24, s57                                     // 00000000353C: 7E300239
	v_add_u32_e32 v24, s7, v24                                 // 000000003540: 68303007
	s_sub_u32 s56, s83, 31                                     // 000000003544: 80B89F53
	v_lshrrev_b32_e32 v20, 4, v0                               // 000000003548: 20280084
	v_mul_i32_i24_e32 v20, 4, v20                              // 00000000354C: 0C282884
	v_add_u32_e32 v20, s56, v20                                // 000000003550: 68282838
	v_add_u32_e32 v21, 1, v20                                  // 000000003554: 682A2881
	v_add_u32_e32 v22, 2, v20                                  // 000000003558: 682C2882
	v_add_u32_e32 v23, 3, v20                                  // 00000000355C: 682E2883
	v_cmp_le_u32_e64 s[38:39], v20, v24                        // 000000003560: D0CB0026 00023114
	v_add_u32_e32 v20, 16, v20                                 // 000000003568: 68282890
	s_nop 0                                                    // 00000000356C: BF800000
	v_cndmask_b32_e64 v40, v25, v40, s[38:39]                  // 000000003570: D1000028 009A5119
	v_cmp_le_u32_e64 s[38:39], v21, v24                        // 000000003578: D0CB0026 00023115
	v_add_u32_e32 v21, 16, v21                                 // 000000003580: 682A2A90
	s_nop 0                                                    // 000000003584: BF800000
	v_cndmask_b32_e64 v41, v25, v41, s[38:39]                  // 000000003588: D1000029 009A5319
	v_cmp_le_u32_e64 s[38:39], v22, v24                        // 000000003590: D0CB0026 00023116
	v_add_u32_e32 v22, 16, v22                                 // 000000003598: 682C2C90
	s_nop 0                                                    // 00000000359C: BF800000
	v_cndmask_b32_e64 v42, v25, v42, s[38:39]                  // 0000000035A0: D100002A 009A5519
	v_cmp_le_u32_e64 s[38:39], v23, v24                        // 0000000035A8: D0CB0026 00023117
	v_add_u32_e32 v23, 16, v23                                 // 0000000035B0: 682E2E90
	s_nop 0                                                    // 0000000035B4: BF800000
	v_cndmask_b32_e64 v43, v25, v43, s[38:39]                  // 0000000035B8: D100002B 009A5719
	v_cmp_le_u32_e64 s[38:39], v20, v24                        // 0000000035C0: D0CB0026 00023114
	v_add_u32_e32 v20, 16, v20                                 // 0000000035C8: 68282890
	s_nop 0                                                    // 0000000035CC: BF800000
	v_cndmask_b32_e64 v44, v25, v44, s[38:39]                  // 0000000035D0: D100002C 009A5919
	v_cmp_le_u32_e64 s[38:39], v21, v24                        // 0000000035D8: D0CB0026 00023115
	v_add_u32_e32 v21, 16, v21                                 // 0000000035E0: 682A2A90
	s_nop 0                                                    // 0000000035E4: BF800000
	v_cndmask_b32_e64 v45, v25, v45, s[38:39]                  // 0000000035E8: D100002D 009A5B19
	v_cmp_le_u32_e64 s[38:39], v22, v24                        // 0000000035F0: D0CB0026 00023116
	v_add_u32_e32 v22, 16, v22                                 // 0000000035F8: 682C2C90
	s_nop 0                                                    // 0000000035FC: BF800000
	v_cndmask_b32_e64 v46, v25, v46, s[38:39]                  // 000000003600: D100002E 009A5D19
	v_cmp_le_u32_e64 s[38:39], v23, v24                        // 000000003608: D0CB0026 00023117
	v_add_u32_e32 v23, 16, v23                                 // 000000003610: 682E2E90
	s_nop 0                                                    // 000000003614: BF800000
	v_cndmask_b32_e64 v47, v25, v47, s[38:39]                  // 000000003618: D100002F 009A5F19

0000000000003620 <label_04C8>:
	buffer_load_dword v19, s[20:23], 0 offen offset:256 lds    // 000000003620: E0511100 80050013
	s_add_u32 m0, 0x3c0, s34                                   // 000000003628: 807C22FF 000003C0
	buffer_load_dword v18, s[20:23], 0 offen offset:320 lds    // 000000003630: E0511140 80050012
	s_add_u32 m0, 0x3c0, s35                                   // 000000003638: 807C23FF 000003C0
	v_max3_f32 v24, v40, v41, v40                              // 000000003640: D1D30018 04A25328
	v_max3_f32 v24, v42, v43, v24                              // 000000003648: D1D30018 0462572A
	v_max3_f32 v24, v44, v45, v24                              // 000000003650: D1D30018 04625B2C
	v_max3_f32 v24, v46, v47, v24                              // 000000003658: D1D30018 04625F2E
	ds_write_b32 v3, v24 offset:53504                          // 000000003660: D81AD100 00001803
	buffer_load_dword v19, s[20:23], 0 offen offset:320 lds    // 000000003668: E0511140 80050013
	s_add_u32 m0, 0x480, s34                                   // 000000003670: 807C22FF 00000480
	buffer_load_dword v18, s[20:23], 0 offen offset:384 lds    // 000000003678: E0511180 80050012
	s_add_u32 m0, 0x480, s35                                   // 000000003680: 807C23FF 00000480
	buffer_load_dword v19, s[20:23], 0 offen offset:384 lds    // 000000003688: E0511180 80050013
	s_add_u32 m0, 0x540, s34                                   // 000000003690: 807C22FF 00000540
	s_waitcnt lgkmcnt(0)                                       // 000000003698: BF8CC07F
	ds_read_b32 v20, v2 offset:53504                           // 00000000369C: D86CD100 14000002
	ds_read_b32 v21, v2 offset:53568                           // 0000000036A4: D86CD140 15000002
	ds_read_b32 v22, v2 offset:53632                           // 0000000036AC: D86CD180 16000002
	ds_read_b32 v23, v2 offset:53696                           // 0000000036B4: D86CD1C0 17000002
	buffer_load_dword v18, s[20:23], 0 offen offset:448 lds    // 0000000036BC: E05111C0 80050012
	s_add_u32 m0, 0x540, s35                                   // 0000000036C4: 807C23FF 00000540
	buffer_load_dword v19, s[20:23], 0 offen offset:448 lds    // 0000000036CC: E05111C0 80050013
	s_add_u32 m0, 0x600, s34                                   // 0000000036D4: 807C22FF 00000600
	buffer_load_dword v18, s[20:23], 0 offen offset:512 lds    // 0000000036DC: E0511200 80050012
	s_add_u32 m0, 0x600, s35                                   // 0000000036E4: 807C23FF 00000600
	s_waitcnt lgkmcnt(0)                                       // 0000000036EC: BF8CC07F
	ds_read_b128 a[72:75], v7 offset:37120                     // 0000000036F0: DBFE9100 48000007
	ds_read_b128 a[76:79], v7 offset:38144                     // 0000000036F8: DBFE9500 4C000007
	v_max3_f32 v24, v20, v21, v24                              // 000000003700: D1D30018 04622B14
	v_max3_f32 v24, v22, v23, v24                              // 000000003708: D1D30018 04622F16
	ds_read_b128 a[80:83], v7 offset:39168                     // 000000003710: DBFE9900 50000007
	ds_read_b128 a[84:87], v7 offset:40192                     // 000000003718: DBFE9D00 54000007
	v_mov_b32_e32 v25, 0xff7fffff                              // 000000003720: 7E3202FF FF7FFFFF
	v_cmp_eq_u32_e64 s[38:39], v25, v12                        // 000000003728: D0CA0026 00021919
	v_max_f32_e32 v20, v24, v12                                // 000000003730: 16281918
	v_sub_f32_e32 v16, v12, v20                                // 000000003734: 0420290C
	v_cndmask_b32_e64 v16, v16, 0, s[38:39]                    // 000000003738: D1000010 00990110
	v_mov_b32_e32 v12, v20                                     // 000000003740: 7E180314
	buffer_load_dword v19, s[20:23], 0 offen offset:512 lds    // 000000003744: E0511200 80050013
	s_add_u32 m0, 0x6c0, s34                                   // 00000000374C: 807C22FF 000006C0
	ds_read_b128 a[88:91], v7 offset:41216                     // 000000003754: DBFEA100 58000007
	ds_read_b128 a[92:95], v7 offset:42240                     // 00000000375C: DBFEA500 5C000007
	v_mul_f32_e32 v21, s5, v20                                 // 000000003764: 0A2A2805
	v_mul_f32_e32 v16, s5, v16                                 // 000000003768: 0A202005
	v_exp_f32_e32 v16, v16                                     // 00000000376C: 7E204110
	v_fma_f32 v40, v40, s5, -v21                               // 000000003770: D1CB0028 84540B28
	v_fma_f32 v41, v41, s5, -v21                               // 000000003778: D1CB0029 84540B29
	v_fma_f32 v42, v42, s5, -v21                               // 000000003780: D1CB002A 84540B2A
	v_fma_f32 v43, v43, s5, -v21                               // 000000003788: D1CB002B 84540B2B
	v_fma_f32 v44, v44, s5, -v21                               // 000000003790: D1CB002C 84540B2C
	v_fma_f32 v45, v45, s5, -v21                               // 000000003798: D1CB002D 84540B2D
	v_fma_f32 v46, v46, s5, -v21                               // 0000000037A0: D1CB002E 84540B2E
	v_fma_f32 v47, v47, s5, -v21                               // 0000000037A8: D1CB002F 84540B2F
	ds_read_b128 a[96:99], v7 offset:43264                     // 0000000037B0: DBFEA900 60000007
	ds_read_b128 a[100:103], v7 offset:44288                   // 0000000037B8: DBFEAD00 64000007
	v_exp_f32_e32 v40, v40                                     // 0000000037C0: 7E504128
	v_exp_f32_e32 v41, v41                                     // 0000000037C4: 7E524129
	v_exp_f32_e32 v42, v42                                     // 0000000037C8: 7E54412A
	v_exp_f32_e32 v43, v43                                     // 0000000037CC: 7E56412B
	v_exp_f32_e32 v44, v44                                     // 0000000037D0: 7E58412C
	v_exp_f32_e32 v45, v45                                     // 0000000037D4: 7E5A412D
	v_exp_f32_e32 v46, v46                                     // 0000000037D8: 7E5C412E
	v_exp_f32_e32 v47, v47                                     // 0000000037DC: 7E5E412F
	v_mul_f32_e32 v14, v16, v14                                // 0000000037E0: 0A1C1D10
	v_mov_b32_e32 v22, v40                                     // 0000000037E4: 7E2C0328
	ds_read_b128 a[104:107], v7 offset:45312                   // 0000000037E8: DBFEB100 68000007
	ds_read_b128 a[108:111], v7 offset:46336                   // 0000000037F0: DBFEB500 6C000007
	v_add_f32_e32 v22, v41, v22                                // 0000000037F8: 022C2D29
	v_add_f32_e32 v22, v42, v22                                // 0000000037FC: 022C2D2A
	v_add_f32_e32 v22, v43, v22                                // 000000003800: 022C2D2B
	v_add_f32_e32 v22, v44, v22                                // 000000003804: 022C2D2C
	v_add_f32_e32 v22, v45, v22                                // 000000003808: 022C2D2D
	v_add_f32_e32 v22, v46, v22                                // 00000000380C: 022C2D2E
	v_add_f32_e32 v22, v47, v22                                // 000000003810: 022C2D2F
	v_add_f32_e32 v14, v22, v14                                // 000000003814: 021C1D16
	ds_read_b128 a[112:115], v7 offset:47360                   // 000000003818: DBFEB900 70000007
	ds_read_b128 a[116:119], v7 offset:48384                   // 000000003820: DBFEBD00 74000007
	v_cvt_pk_fp8_f32 v40, v40, v41                             // 000000003828: D2A20028 00025328
	v_cvt_pk_fp8_f32 v40, v42, v43 op_sel:[0,0,1]              // 000000003830: D2A24028 0002572A
	v_cvt_pk_fp8_f32 v41, v44, v45                             // 000000003838: D2A20029 00025B2C
	v_cvt_pk_fp8_f32 v41, v46, v47 op_sel:[0,0,1]              // 000000003840: D2A24029 00025F2E
	s_add_u32 s83, s84, s83                                    // 000000003848: 80535354
	ds_read_b128 a[120:123], v7 offset:49408                   // 00000000384C: DBFEC100 78000007
	ds_read_b128 a[124:127], v7 offset:50432                   // 000000003854: DBFEC500 7C000007
	v_mul_u32_u24_dpp v18, v11, v9 row_newbcast:0 row_mask:0xf bank_mask:0xf// 00000000385C: 102412FA FF01500B
	v_mul_u32_u24_dpp v19, v11, v9 row_newbcast:8 row_mask:0xf bank_mask:0xf// 000000003864: 102612FA FF01580B
	v_add_u32_e32 v18, v18, v1                                 // 00000000386C: 68240312
	v_add_u32_e32 v19, v19, v1                                 // 000000003870: 68260313
	s_mov_b32 m0, s36                                          // 000000003874: BEFC0024
	ds_read_b128 a[128:131], v7 offset:51456                   // 000000003878: DBFEC900 80000007
	ds_read_b128 a[132:135], v7 offset:52480                   // 000000003880: DBFECD00 84000007
	v_mov_b32_e32 v22, v16                                     // 000000003888: 7E2C0310
	v_mov_b32_e32 v23, v16                                     // 00000000388C: 7E2E0310
	v_pk_mul_f32 v[56:57], v[22:23], v[56:57]                  // 000000003890: D3B14038 18027116
	v_pk_mul_f32 v[58:59], v[22:23], v[58:59]                  // 000000003898: D3B1403A 18027516
	v_pk_mul_f32 v[60:61], v[22:23], v[60:61]                  // 0000000038A0: D3B1403C 18027916
	v_pk_mul_f32 v[62:63], v[22:23], v[62:63]                  // 0000000038A8: D3B1403E 18027D16
	v_pk_mul_f32 v[64:65], v[22:23], v[64:65]                  // 0000000038B0: D3B14040 18028116
	v_pk_mul_f32 v[66:67], v[22:23], v[66:67]                  // 0000000038B8: D3B14042 18028516
	v_pk_mul_f32 v[68:69], v[22:23], v[68:69]                  // 0000000038C0: D3B14044 18028916
	v_pk_mul_f32 v[70:71], v[22:23], v[70:71]                  // 0000000038C8: D3B14046 18028D16
	v_pk_mul_f32 v[72:73], v[22:23], v[72:73]                  // 0000000038D0: D3B14048 18029116
	v_pk_mul_f32 v[74:75], v[22:23], v[74:75]                  // 0000000038D8: D3B1404A 18029516
	v_pk_mul_f32 v[76:77], v[22:23], v[76:77]                  // 0000000038E0: D3B1404C 18029916
	v_pk_mul_f32 v[78:79], v[22:23], v[78:79]                  // 0000000038E8: D3B1404E 18029D16
	v_pk_mul_f32 v[80:81], v[22:23], v[80:81]                  // 0000000038F0: D3B14050 1802A116
	v_pk_mul_f32 v[82:83], v[22:23], v[82:83]                  // 0000000038F8: D3B14052 1802A516
	v_pk_mul_f32 v[84:85], v[22:23], v[84:85]                  // 000000003900: D3B14054 1802A916
	v_pk_mul_f32 v[86:87], v[22:23], v[86:87]                  // 000000003908: D3B14056 1802AD16
	v_pk_mul_f32 v[88:89], v[22:23], v[88:89]                  // 000000003910: D3B14058 1802B116
	v_pk_mul_f32 v[90:91], v[22:23], v[90:91]                  // 000000003918: D3B1405A 1802B516
	v_pk_mul_f32 v[92:93], v[22:23], v[92:93]                  // 000000003920: D3B1405C 1802B916
	v_pk_mul_f32 v[94:95], v[22:23], v[94:95]                  // 000000003928: D3B1405E 1802BD16
	v_pk_mul_f32 v[96:97], v[22:23], v[96:97]                  // 000000003930: D3B14060 1802C116
	v_pk_mul_f32 v[98:99], v[22:23], v[98:99]                  // 000000003938: D3B14062 1802C516
	v_pk_mul_f32 v[100:101], v[22:23], v[100:101]              // 000000003940: D3B14064 1802C916
	v_pk_mul_f32 v[102:103], v[22:23], v[102:103]              // 000000003948: D3B14066 1802CD16
	v_pk_mul_f32 v[104:105], v[22:23], v[104:105]              // 000000003950: D3B14068 1802D116
	v_pk_mul_f32 v[106:107], v[22:23], v[106:107]              // 000000003958: D3B1406A 1802D516
	v_pk_mul_f32 v[108:109], v[22:23], v[108:109]              // 000000003960: D3B1406C 1802D916
	v_pk_mul_f32 v[110:111], v[22:23], v[110:111]              // 000000003968: D3B1406E 1802DD16
	v_pk_mul_f32 v[112:113], v[22:23], v[112:113]              // 000000003970: D3B14070 1802E116
	v_pk_mul_f32 v[114:115], v[22:23], v[114:115]              // 000000003978: D3B14072 1802E516
	v_pk_mul_f32 v[116:117], v[22:23], v[116:117]              // 000000003980: D3B14074 1802E916
	v_pk_mul_f32 v[118:119], v[22:23], v[118:119]              // 000000003988: D3B14076 1802ED16
	v_pk_mul_f32 v[120:121], v[22:23], v[120:121]              // 000000003990: D3B14078 1802F116
	v_pk_mul_f32 v[122:123], v[22:23], v[122:123]              // 000000003998: D3B1407A 1802F516
	v_pk_mul_f32 v[124:125], v[22:23], v[124:125]              // 0000000039A0: D3B1407C 1802F916
	v_pk_mul_f32 v[126:127], v[22:23], v[126:127]              // 0000000039A8: D3B1407E 1802FD16
	v_pk_mul_f32 v[128:129], v[22:23], v[128:129]              // 0000000039B0: D3B14080 18030116
	v_pk_mul_f32 v[130:131], v[22:23], v[130:131]              // 0000000039B8: D3B14082 18030516
	v_pk_mul_f32 v[132:133], v[22:23], v[132:133]              // 0000000039C0: D3B14084 18030916
	v_pk_mul_f32 v[134:135], v[22:23], v[134:135]              // 0000000039C8: D3B14086 18030D16
	v_pk_mul_f32 v[136:137], v[22:23], v[136:137]              // 0000000039D0: D3B14088 18031116
	v_pk_mul_f32 v[138:139], v[22:23], v[138:139]              // 0000000039D8: D3B1408A 18031516
	v_pk_mul_f32 v[140:141], v[22:23], v[140:141]              // 0000000039E0: D3B1408C 18031916
	v_pk_mul_f32 v[142:143], v[22:23], v[142:143]              // 0000000039E8: D3B1408E 18031D16
	v_pk_mul_f32 v[144:145], v[22:23], v[144:145]              // 0000000039F0: D3B14090 18032116
	v_pk_mul_f32 v[146:147], v[22:23], v[146:147]              // 0000000039F8: D3B14092 18032516
	v_pk_mul_f32 v[148:149], v[22:23], v[148:149]              // 000000003A00: D3B14094 18032916
	v_pk_mul_f32 v[150:151], v[22:23], v[150:151]              // 000000003A08: D3B14096 18032D16
	v_pk_mul_f32 v[152:153], v[22:23], v[152:153]              // 000000003A10: D3B14098 18033116
	v_pk_mul_f32 v[154:155], v[22:23], v[154:155]              // 000000003A18: D3B1409A 18033516
	v_pk_mul_f32 v[156:157], v[22:23], v[156:157]              // 000000003A20: D3B1409C 18033916
	v_pk_mul_f32 v[158:159], v[22:23], v[158:159]              // 000000003A28: D3B1409E 18033D16
	v_pk_mul_f32 v[160:161], v[22:23], v[160:161]              // 000000003A30: D3B140A0 18034116
	v_pk_mul_f32 v[162:163], v[22:23], v[162:163]              // 000000003A38: D3B140A2 18034516
	v_pk_mul_f32 v[164:165], v[22:23], v[164:165]              // 000000003A40: D3B140A4 18034916
	v_pk_mul_f32 v[166:167], v[22:23], v[166:167]              // 000000003A48: D3B140A6 18034D16
	v_pk_mul_f32 v[168:169], v[22:23], v[168:169]              // 000000003A50: D3B140A8 18035116
	v_pk_mul_f32 v[170:171], v[22:23], v[170:171]              // 000000003A58: D3B140AA 18035516
	v_pk_mul_f32 v[172:173], v[22:23], v[172:173]              // 000000003A60: D3B140AC 18035916
	v_pk_mul_f32 v[174:175], v[22:23], v[174:175]              // 000000003A68: D3B140AE 18035D16
	v_pk_mul_f32 v[176:177], v[22:23], v[176:177]              // 000000003A70: D3B140B0 18036116
	v_pk_mul_f32 v[178:179], v[22:23], v[178:179]              // 000000003A78: D3B140B2 18036516
	v_pk_mul_f32 v[180:181], v[22:23], v[180:181]              // 000000003A80: D3B140B4 18036916
	v_pk_mul_f32 v[182:183], v[22:23], v[182:183]              // 000000003A88: D3B140B6 18036D16
	s_waitcnt lgkmcnt(0)                                       // 000000003A90: BF8CC07F
	s_waitcnt vmcnt(18)                                        // 000000003A94: BF8C4F72
	s_barrier                                                  // 000000003A98: BF8A0000
	v_mfma_f32_16x16x32_fp8_fp8 v[56:59], a[72:73], v[40:41], v[56:59]// 000000003A9C: D3F30038 0CE25148
	v_mfma_f32_16x16x32_fp8_fp8 v[60:63], a[74:75], v[40:41], v[60:63]// 000000003AA4: D3F3003C 0CF2514A
	ds_read_b32 v20, v5 offset:18560                           // 000000003AAC: D86C4880 14000005
	ds_read_b32 v21, v5 offset:23200                           // 000000003AB4: D86C5AA0 15000005
	ds_read_b32 v22, v5 offset:27840                           // 000000003ABC: D86C6CC0 16000005
	ds_read_b32 v23, v5 offset:32480                           // 000000003AC4: D86C7EE0 17000005
	v_mfma_f32_16x16x32_fp8_fp8 v[64:67], a[76:77], v[40:41], v[64:67]// 000000003ACC: D3F30040 0D02514C
	v_mfma_f32_16x16x32_fp8_fp8 v[68:71], a[78:79], v[40:41], v[68:71]// 000000003AD4: D3F30044 0D12514E
	ds_read_b32 v24, v5 offset:18688                           // 000000003ADC: D86C4900 18000005
	ds_read_b32 v25, v5 offset:23328                           // 000000003AE4: D86C5B20 19000005
	ds_read_b32 v26, v5 offset:27968                           // 000000003AEC: D86C6D40 1A000005
	ds_read_b32 v27, v5 offset:32608                           // 000000003AF4: D86C7F60 1B000005
	v_mfma_f32_16x16x32_fp8_fp8 v[72:75], a[80:81], v[40:41], v[72:75]// 000000003AFC: D3F30048 0D225150
	v_mfma_f32_16x16x32_fp8_fp8 v[76:79], a[82:83], v[40:41], v[76:79]// 000000003B04: D3F3004C 0D325152
	v_mfma_f32_16x16x32_fp8_fp8 v[80:83], a[84:85], v[40:41], v[80:83]// 000000003B0C: D3F30050 0D425154
	v_mfma_f32_16x16x32_fp8_fp8 v[84:87], a[86:87], v[40:41], v[84:87]// 000000003B14: D3F30054 0D525156
	v_mfma_f32_16x16x32_fp8_fp8 v[88:91], a[88:89], v[40:41], v[88:91]// 000000003B1C: D3F30058 0D625158
	v_mfma_f32_16x16x32_fp8_fp8 v[92:95], a[90:91], v[40:41], v[92:95]// 000000003B24: D3F3005C 0D72515A
	s_waitcnt lgkmcnt(0)                                       // 000000003B2C: BF8CC07F
	v_perm_b32 v32, v22, v20, s52                              // 000000003B30: D1ED0020 00D22916
	v_perm_b32 v33, v22, v20, s53                              // 000000003B38: D1ED0021 00D62916
	v_perm_b32 v34, v23, v21, s52                              // 000000003B40: D1ED0022 00D22B17
	v_perm_b32 v35, v23, v21, s53                              // 000000003B48: D1ED0023 00D62B17
	v_perm_b32 v28, v34, v32, s54                              // 000000003B50: D1ED001C 00DA4122
	v_perm_b32 v36, v34, v32, s55                              // 000000003B58: D1ED0024 00DE4122
	v_perm_b32 v30, v35, v33, s54                              // 000000003B60: D1ED001E 00DA4323
	v_perm_b32 v38, v35, v33, s55                              // 000000003B68: D1ED0026 00DE4323
	v_perm_b32 v32, v26, v24, s52                              // 000000003B70: D1ED0020 00D2311A
	v_perm_b32 v33, v26, v24, s53                              // 000000003B78: D1ED0021 00D6311A
	v_perm_b32 v34, v27, v25, s52                              // 000000003B80: D1ED0022 00D2331B
	v_perm_b32 v35, v27, v25, s53                              // 000000003B88: D1ED0023 00D6331B
	v_perm_b32 v29, v34, v32, s54                              // 000000003B90: D1ED001D 00DA4122
	v_perm_b32 v37, v34, v32, s55                              // 000000003B98: D1ED0025 00DE4122
	v_perm_b32 v31, v35, v33, s54                              // 000000003BA0: D1ED001F 00DA4323
	v_perm_b32 v39, v35, v33, s55                              // 000000003BA8: D1ED0027 00DE4323
	v_mfma_f32_16x16x32_fp8_fp8 v[96:99], a[92:93], v[40:41], v[96:99]// 000000003BB0: D3F30060 0D82515C
	v_mfma_f32_16x16x32_fp8_fp8 v[100:103], a[94:95], v[40:41], v[100:103]// 000000003BB8: D3F30064 0D92515E
	ds_write_b128 v6, v[28:31] offset:37120                    // 000000003BC0: D9BE9100 00001C06
	v_mfma_f32_16x16x32_fp8_fp8 v[104:107], a[96:97], v[40:41], v[104:107]// 000000003BC8: D3F30068 0DA25160
	v_mfma_f32_16x16x32_fp8_fp8 v[108:111], a[98:99], v[40:41], v[108:111]// 000000003BD0: D3F3006C 0DB25162
	v_mfma_f32_16x16x32_fp8_fp8 v[112:115], a[100:101], v[40:41], v[112:115]// 000000003BD8: D3F30070 0DC25164
	v_mfma_f32_16x16x32_fp8_fp8 v[116:119], a[102:103], v[40:41], v[116:119]// 000000003BE0: D3F30074 0DD25166
	ds_write_b128 v6, v[36:39] offset:38144                    // 000000003BE8: D9BE9500 00002406
	v_mfma_f32_16x16x32_fp8_fp8 v[120:123], a[104:105], v[40:41], v[120:123]// 000000003BF0: D3F30078 0DE25168
	v_mfma_f32_16x16x32_fp8_fp8 v[124:127], a[106:107], v[40:41], v[124:127]// 000000003BF8: D3F3007C 0DF2516A
	v_mfma_f32_16x16x32_fp8_fp8 v[128:131], a[108:109], v[40:41], v[128:131]// 000000003C00: D3F30080 0E02516C
	v_mfma_f32_16x16x32_fp8_fp8 v[132:135], a[110:111], v[40:41], v[132:135]// 000000003C08: D3F30084 0E12516E
	ds_read_b32 v20, v5 offset:19584                           // 000000003C10: D86C4C80 14000005
	ds_read_b32 v21, v5 offset:24224                           // 000000003C18: D86C5EA0 15000005
	ds_read_b32 v22, v5 offset:28864                           // 000000003C20: D86C70C0 16000005
	ds_read_b32 v23, v5 offset:33504                           // 000000003C28: D86C82E0 17000005
	v_mfma_f32_16x16x32_fp8_fp8 v[136:139], a[112:113], v[40:41], v[136:139]// 000000003C30: D3F30088 0E225170
	v_mfma_f32_16x16x32_fp8_fp8 v[140:143], a[114:115], v[40:41], v[140:143]// 000000003C38: D3F3008C 0E325172
	ds_read_b32 v24, v5 offset:19712                           // 000000003C40: D86C4D00 18000005
	ds_read_b32 v25, v5 offset:24352                           // 000000003C48: D86C5F20 19000005
	ds_read_b32 v26, v5 offset:28992                           // 000000003C50: D86C7140 1A000005
	ds_read_b32 v27, v5 offset:33632                           // 000000003C58: D86C8360 1B000005
	v_mfma_f32_16x16x32_fp8_fp8 v[144:147], a[116:117], v[40:41], v[144:147]// 000000003C60: D3F30090 0E425174
	v_mfma_f32_16x16x32_fp8_fp8 v[148:151], a[118:119], v[40:41], v[148:151]// 000000003C68: D3F30094 0E525176
	ds_read_b128 a[72:75], v4 offset:18560                     // 000000003C70: DBFE4880 48000004
	ds_read_b128 a[76:79], v4 offset:18816                     // 000000003C78: DBFE4980 4C000004
	v_mfma_f32_16x16x32_fp8_fp8 v[152:155], a[120:121], v[40:41], v[152:155]// 000000003C80: D3F30098 0E625178
	v_mfma_f32_16x16x32_fp8_fp8 v[156:159], a[122:123], v[40:41], v[156:159]// 000000003C88: D3F3009C 0E72517A
	ds_read_b128 a[80:83], v4 offset:19072                     // 000000003C90: DBFE4A80 50000004
	ds_read_b128 a[84:87], v4 offset:19328                     // 000000003C98: DBFE4B80 54000004
	v_mfma_f32_16x16x32_fp8_fp8 v[160:163], a[124:125], v[40:41], v[160:163]// 000000003CA0: D3F300A0 0E82517C
	v_mfma_f32_16x16x32_fp8_fp8 v[164:167], a[126:127], v[40:41], v[164:167]// 000000003CA8: D3F300A4 0E92517E
	ds_read_b128 a[88:91], v4 offset:19584                     // 000000003CB0: DBFE4C80 58000004
	ds_read_b128 a[92:95], v4 offset:19840                     // 000000003CB8: DBFE4D80 5C000004
	v_mfma_f32_16x16x32_fp8_fp8 v[168:171], a[128:129], v[40:41], v[168:171]// 000000003CC0: D3F300A8 0EA25180
	v_mfma_f32_16x16x32_fp8_fp8 v[172:175], a[130:131], v[40:41], v[172:175]// 000000003CC8: D3F300AC 0EB25182
	ds_read_b128 a[96:99], v4 offset:20096                     // 000000003CD0: DBFE4E80 60000004
	ds_read_b128 a[100:103], v4 offset:20352                   // 000000003CD8: DBFE4F80 64000004
	v_mfma_f32_16x16x32_fp8_fp8 v[176:179], a[132:133], v[40:41], v[176:179]// 000000003CE0: D3F300B0 0EC25184
	v_mfma_f32_16x16x32_fp8_fp8 v[180:183], a[134:135], v[40:41], v[180:183]// 000000003CE8: D3F300B4 0ED25186
	s_nop 0                                                    // 000000003CF0: BF800000
	s_addk_i32 s70, 0x1                                        // 000000003CF4: B7460001
	s_cmp_lt_i32 s70, s71                                      // 000000003CF8: BF044746
	s_cbranch_scc0 label_0923                                  // 000000003CFC: BF8402A3
	s_waitcnt lgkmcnt(6)                                       // 000000003D00: BF8CC67F
	v_mfma_f32_16x16x32_fp8_fp8 v[40:43], a[72:73], a[0:1], 0  // 000000003D04: D3F30028 1A020148
	ds_read_b128 a[104:107], v4 offset:20608                   // 000000003D0C: DBFE5080 68000004
	ds_read_b128 a[108:111], v4 offset:18688                   // 000000003D14: DBFE4900 6C000004
	v_mfma_f32_16x16x32_fp8_fp8 v[40:43], a[74:75], a[2:3], v[40:43]// 000000003D1C: D3F30028 1CA2054A
	buffer_load_dword v11, v8, s[24:27], 0 offen               // 000000003D24: E0501000 80060B08
	v_mfma_f32_16x16x32_fp8_fp8 v[40:43], a[76:77], a[4:5], v[40:43]// 000000003D2C: D3F30028 1CA2094C
	v_mfma_f32_16x16x32_fp8_fp8 v[40:43], a[78:79], a[6:7], v[40:43]// 000000003D34: D3F30028 1CA20D4E
	v_mfma_f32_16x16x32_fp8_fp8 v[40:43], a[80:81], a[8:9], v[40:43]// 000000003D3C: D3F30028 1CA21150
	ds_read_b128 a[112:115], v4 offset:18944                   // 000000003D44: DBFE4A00 70000004
	ds_read_b128 a[116:119], v4 offset:19200                   // 000000003D4C: DBFE4B00 74000004
	v_mfma_f32_16x16x32_fp8_fp8 v[40:43], a[82:83], a[10:11], v[40:43]// 000000003D54: D3F30028 1CA21552
	v_mfma_f32_16x16x32_fp8_fp8 v[40:43], a[84:85], a[12:13], v[40:43]// 000000003D5C: D3F30028 1CA21954
	v_mfma_f32_16x16x32_fp8_fp8 v[40:43], a[86:87], a[14:15], v[40:43]// 000000003D64: D3F30028 1CA21D56
	s_waitcnt lgkmcnt(6)                                       // 000000003D6C: BF8CC67F
	v_mfma_f32_16x16x32_fp8_fp8 v[40:43], a[88:89], a[16:17], v[40:43]// 000000003D70: D3F30028 1CA22158
	ds_read_b128 a[120:123], v4 offset:19456                   // 000000003D78: DBFE4C00 78000004
	ds_read_b128 a[124:127], v4 offset:19712                   // 000000003D80: DBFE4D00 7C000004
	v_mfma_f32_16x16x32_fp8_fp8 v[40:43], a[90:91], a[18:19], v[40:43]// 000000003D88: D3F30028 1CA2255A
	v_mfma_f32_16x16x32_fp8_fp8 v[40:43], a[92:93], a[20:21], v[40:43]// 000000003D90: D3F30028 1CA2295C
	v_mfma_f32_16x16x32_fp8_fp8 v[40:43], a[94:95], a[22:23], v[40:43]// 000000003D98: D3F30028 1CA22D5E
	v_mfma_f32_16x16x32_fp8_fp8 v[40:43], a[96:97], a[24:25], v[40:43]// 000000003DA0: D3F30028 1CA23160
	ds_read_b128 a[128:131], v4 offset:19968                   // 000000003DA8: DBFE4E00 80000004
	ds_read_b128 a[132:135], v4 offset:20224                   // 000000003DB0: DBFE4F00 84000004
	v_mfma_f32_16x16x32_fp8_fp8 v[40:43], a[98:99], a[26:27], v[40:43]// 000000003DB8: D3F30028 1CA23562
	v_mfma_f32_16x16x32_fp8_fp8 v[40:43], a[100:101], a[28:29], v[40:43]// 000000003DC0: D3F30028 1CA23964
	v_mfma_f32_16x16x32_fp8_fp8 v[40:43], a[102:103], a[30:31], v[40:43]// 000000003DC8: D3F30028 1CA23D66
	s_waitcnt lgkmcnt(6)                                       // 000000003DD0: BF8CC67F
	s_barrier                                                  // 000000003DD4: BF8A0000
	v_mfma_f32_16x16x32_fp8_fp8 v[40:43], a[104:105], a[32:33], v[40:43]// 000000003DD8: D3F30028 1CA24168
	ds_read_b128 a[136:139], v4 offset:20480                   // 000000003DE0: DBFE5000 88000004
	ds_read_b128 a[140:143], v4 offset:20736                   // 000000003DE8: DBFE5100 8C000004
	v_mfma_f32_16x16x32_fp8_fp8 v[40:43], a[106:107], a[34:35], v[40:43]// 000000003DF0: D3F30028 1CA2456A
	v_mfma_f32_16x16x32_fp8_fp8 v[44:47], a[108:109], a[0:1], 0// 000000003DF8: D3F3002C 1A02016C
	v_perm_b32 v32, v22, v20, s52                              // 000000003E00: D1ED0020 00D22916
	v_perm_b32 v33, v22, v20, s53                              // 000000003E08: D1ED0021 00D62916
	v_perm_b32 v34, v23, v21, s52                              // 000000003E10: D1ED0022 00D22B17
	v_perm_b32 v35, v23, v21, s53                              // 000000003E18: D1ED0023 00D62B17
	v_perm_b32 v28, v34, v32, s54                              // 000000003E20: D1ED001C 00DA4122
	v_perm_b32 v36, v34, v32, s55                              // 000000003E28: D1ED0024 00DE4122
	v_perm_b32 v30, v35, v33, s54                              // 000000003E30: D1ED001E 00DA4323
	v_perm_b32 v38, v35, v33, s55                              // 000000003E38: D1ED0026 00DE4323
	v_mfma_f32_16x16x32_fp8_fp8 v[44:47], a[110:111], a[2:3], v[44:47]// 000000003E40: D3F3002C 1CB2056E
	buffer_load_dword v18, s[20:23], 0 offen lds               // 000000003E48: E0511000 80050012
	s_add_u32 m0, 0, s37                                       // 000000003E50: 807C2580
	v_mfma_f32_16x16x32_fp8_fp8 v[44:47], a[112:113], a[4:5], v[44:47]// 000000003E54: D3F3002C 1CB20970
	v_perm_b32 v32, v26, v24, s52                              // 000000003E5C: D1ED0020 00D2311A
	v_perm_b32 v33, v26, v24, s53                              // 000000003E64: D1ED0021 00D6311A
	v_perm_b32 v34, v27, v25, s52                              // 000000003E6C: D1ED0022 00D2331B
	v_perm_b32 v35, v27, v25, s53                              // 000000003E74: D1ED0023 00D6331B
	v_perm_b32 v29, v34, v32, s54                              // 000000003E7C: D1ED001D 00DA4122
	v_perm_b32 v37, v34, v32, s55                              // 000000003E84: D1ED0025 00DE4122
	v_perm_b32 v31, v35, v33, s54                              // 000000003E8C: D1ED001F 00DA4323
	v_perm_b32 v39, v35, v33, s55                              // 000000003E94: D1ED0027 00DE4323
	v_mfma_f32_16x16x32_fp8_fp8 v[44:47], a[114:115], a[6:7], v[44:47]// 000000003E9C: D3F3002C 1CB20D72
	buffer_load_dword v19, s[20:23], 0 offen lds               // 000000003EA4: E0511000 80050013
	s_add_u32 m0, 0xc0, s36                                    // 000000003EAC: 807C24FF 000000C0
	v_mfma_f32_16x16x32_fp8_fp8 v[44:47], a[116:117], a[8:9], v[44:47]// 000000003EB4: D3F3002C 1CB21174
	ds_write_b128 v6, v[28:31] offset:45312                    // 000000003EBC: D9BEB100 00001C06
	v_mfma_f32_16x16x32_fp8_fp8 v[44:47], a[118:119], a[10:11], v[44:47]// 000000003EC4: D3F3002C 1CB21576
	buffer_load_dword v18, s[20:23], 0 offen offset:64 lds     // 000000003ECC: E0511040 80050012
	s_add_u32 m0, 0xc0, s37                                    // 000000003ED4: 807C25FF 000000C0
	s_waitcnt lgkmcnt(1)                                       // 000000003EDC: BF8CC17F
	v_mfma_f32_16x16x32_fp8_fp8 v[44:47], a[120:121], a[12:13], v[44:47]// 000000003EE0: D3F3002C 1CB21978
	v_mfma_f32_16x16x32_fp8_fp8 v[44:47], a[122:123], a[14:15], v[44:47]// 000000003EE8: D3F3002C 1CB21D7A
	buffer_load_dword v19, s[20:23], 0 offen offset:64 lds     // 000000003EF0: E0511040 80050013
	s_add_u32 m0, 0x180, s36                                   // 000000003EF8: 807C24FF 00000180
	v_mfma_f32_16x16x32_fp8_fp8 v[44:47], a[124:125], a[16:17], v[44:47]// 000000003F00: D3F3002C 1CB2217C
	v_mfma_f32_16x16x32_fp8_fp8 v[44:47], a[126:127], a[18:19], v[44:47]// 000000003F08: D3F3002C 1CB2257E
	buffer_load_dword v18, s[20:23], 0 offen offset:128 lds    // 000000003F10: E0511080 80050012
	s_add_u32 m0, 0x180, s37                                   // 000000003F18: 807C25FF 00000180
	v_mfma_f32_16x16x32_fp8_fp8 v[44:47], a[128:129], a[20:21], v[44:47]// 000000003F20: D3F3002C 1CB22980
	v_mfma_f32_16x16x32_fp8_fp8 v[44:47], a[130:131], a[22:23], v[44:47]// 000000003F28: D3F3002C 1CB22D82
	buffer_load_dword v19, s[20:23], 0 offen offset:128 lds    // 000000003F30: E0511080 80050013
	s_add_u32 m0, 0x240, s36                                   // 000000003F38: 807C24FF 00000240
	v_mfma_f32_16x16x32_fp8_fp8 v[44:47], a[132:133], a[24:25], v[44:47]// 000000003F40: D3F3002C 1CB23184
	ds_write_b128 v6, v[36:39] offset:46336                    // 000000003F48: D9BEB500 00002406
	v_mfma_f32_16x16x32_fp8_fp8 v[44:47], a[134:135], a[26:27], v[44:47]// 000000003F50: D3F3002C 1CB23586
	buffer_load_dword v18, s[20:23], 0 offen offset:192 lds    // 000000003F58: E05110C0 80050012
	s_add_u32 m0, 0x240, s37                                   // 000000003F60: 807C25FF 00000240
	v_mfma_f32_16x16x32_fp8_fp8 v[44:47], a[136:137], a[28:29], v[44:47]// 000000003F68: D3F3002C 1CB23988
	v_mfma_f32_16x16x32_fp8_fp8 v[44:47], a[138:139], a[30:31], v[44:47]// 000000003F70: D3F3002C 1CB23D8A
	buffer_load_dword v19, s[20:23], 0 offen offset:192 lds    // 000000003F78: E05110C0 80050013
	s_add_u32 m0, 0x300, s36                                   // 000000003F80: 807C24FF 00000300
	v_mfma_f32_16x16x32_fp8_fp8 v[44:47], a[140:141], a[32:33], v[44:47]// 000000003F88: D3F3002C 1CB2418C
	v_mfma_f32_16x16x32_fp8_fp8 v[44:47], a[142:143], a[34:35], v[44:47]// 000000003F90: D3F3002C 1CB2458E
	buffer_load_dword v18, s[20:23], 0 offen offset:256 lds    // 000000003F98: E0511100 80050012
	s_add_u32 m0, 0x300, s37                                   // 000000003FA0: 807C25FF 00000300
	v_add_u32_e32 v8, s73, v8                                  // 000000003FA8: 68101049
	s_cmp_le_i32 s83, s82                                      // 000000003FAC: BF055253
	s_cbranch_scc1 label_0769                                  // 000000003FB0: BF85003C
	v_mov_b32_e32 v25, 0xff800000                              // 000000003FB4: 7E3202FF FF800000
	s_add_u32 s57, s82, 0                                      // 000000003FBC: 80398052
	v_mov_b32_e32 v24, s57                                     // 000000003FC0: 7E300239
	v_add_u32_e32 v24, s7, v24                                 // 000000003FC4: 68303007
	s_sub_u32 s56, s83, 31                                     // 000000003FC8: 80B89F53
	v_lshrrev_b32_e32 v20, 4, v0                               // 000000003FCC: 20280084
	v_mul_i32_i24_e32 v20, 4, v20                              // 000000003FD0: 0C282884
	v_add_u32_e32 v20, s56, v20                                // 000000003FD4: 68282838
	v_add_u32_e32 v21, 1, v20                                  // 000000003FD8: 682A2881
	v_add_u32_e32 v22, 2, v20                                  // 000000003FDC: 682C2882
	v_add_u32_e32 v23, 3, v20                                  // 000000003FE0: 682E2883
	v_cmp_le_u32_e64 s[38:39], v20, v24                        // 000000003FE4: D0CB0026 00023114
	v_add_u32_e32 v20, 16, v20                                 // 000000003FEC: 68282890
	s_nop 0                                                    // 000000003FF0: BF800000
	v_cndmask_b32_e64 v40, v25, v40, s[38:39]                  // 000000003FF4: D1000028 009A5119
	v_cmp_le_u32_e64 s[38:39], v21, v24                        // 000000003FFC: D0CB0026 00023115
	v_add_u32_e32 v21, 16, v21                                 // 000000004004: 682A2A90
	s_nop 0                                                    // 000000004008: BF800000
	v_cndmask_b32_e64 v41, v25, v41, s[38:39]                  // 00000000400C: D1000029 009A5319
	v_cmp_le_u32_e64 s[38:39], v22, v24                        // 000000004014: D0CB0026 00023116
	v_add_u32_e32 v22, 16, v22                                 // 00000000401C: 682C2C90
	s_nop 0                                                    // 000000004020: BF800000
	v_cndmask_b32_e64 v42, v25, v42, s[38:39]                  // 000000004024: D100002A 009A5519
	v_cmp_le_u32_e64 s[38:39], v23, v24                        // 00000000402C: D0CB0026 00023117
	v_add_u32_e32 v23, 16, v23                                 // 000000004034: 682E2E90
	s_nop 0                                                    // 000000004038: BF800000
	v_cndmask_b32_e64 v43, v25, v43, s[38:39]                  // 00000000403C: D100002B 009A5719
	v_cmp_le_u32_e64 s[38:39], v20, v24                        // 000000004044: D0CB0026 00023114
	v_add_u32_e32 v20, 16, v20                                 // 00000000404C: 68282890
	s_nop 0                                                    // 000000004050: BF800000
	v_cndmask_b32_e64 v44, v25, v44, s[38:39]                  // 000000004054: D100002C 009A5919
	v_cmp_le_u32_e64 s[38:39], v21, v24                        // 00000000405C: D0CB0026 00023115
	v_add_u32_e32 v21, 16, v21                                 // 000000004064: 682A2A90
	s_nop 0                                                    // 000000004068: BF800000
	v_cndmask_b32_e64 v45, v25, v45, s[38:39]                  // 00000000406C: D100002D 009A5B19
	v_cmp_le_u32_e64 s[38:39], v22, v24                        // 000000004074: D0CB0026 00023116
	v_add_u32_e32 v22, 16, v22                                 // 00000000407C: 682C2C90
	s_nop 0                                                    // 000000004080: BF800000
	v_cndmask_b32_e64 v46, v25, v46, s[38:39]                  // 000000004084: D100002E 009A5D19
	v_cmp_le_u32_e64 s[38:39], v23, v24                        // 00000000408C: D0CB0026 00023117
	v_add_u32_e32 v23, 16, v23                                 // 000000004094: 682E2E90
	s_nop 0                                                    // 000000004098: BF800000
	v_cndmask_b32_e64 v47, v25, v47, s[38:39]                  // 00000000409C: D100002F 009A5F19

00000000000040a4 <label_0769>:
	buffer_load_dword v19, s[20:23], 0 offen offset:256 lds    // 0000000040A4: E0511100 80050013
	s_add_u32 m0, 0x3c0, s36                                   // 0000000040AC: 807C24FF 000003C0
	buffer_load_dword v18, s[20:23], 0 offen offset:320 lds    // 0000000040B4: E0511140 80050012
	s_add_u32 m0, 0x3c0, s37                                   // 0000000040BC: 807C25FF 000003C0
	v_max3_f32 v24, v40, v41, v40                              // 0000000040C4: D1D30018 04A25328
	v_max3_f32 v24, v42, v43, v24                              // 0000000040CC: D1D30018 0462572A
	v_max3_f32 v24, v44, v45, v24                              // 0000000040D4: D1D30018 04625B2C
	v_max3_f32 v24, v46, v47, v24                              // 0000000040DC: D1D30018 04625F2E
	ds_write_b32 v3, v24 offset:53504                          // 0000000040E4: D81AD100 00001803
	buffer_load_dword v19, s[20:23], 0 offen offset:320 lds    // 0000000040EC: E0511140 80050013
	s_add_u32 m0, 0x480, s36                                   // 0000000040F4: 807C24FF 00000480
	buffer_load_dword v18, s[20:23], 0 offen offset:384 lds    // 0000000040FC: E0511180 80050012
	s_add_u32 m0, 0x480, s37                                   // 000000004104: 807C25FF 00000480
	buffer_load_dword v19, s[20:23], 0 offen offset:384 lds    // 00000000410C: E0511180 80050013
	s_add_u32 m0, 0x540, s36                                   // 000000004114: 807C24FF 00000540
	s_waitcnt lgkmcnt(0)                                       // 00000000411C: BF8CC07F
	ds_read_b32 v20, v2 offset:53504                           // 000000004120: D86CD100 14000002
	ds_read_b32 v21, v2 offset:53568                           // 000000004128: D86CD140 15000002
	ds_read_b32 v22, v2 offset:53632                           // 000000004130: D86CD180 16000002
	ds_read_b32 v23, v2 offset:53696                           // 000000004138: D86CD1C0 17000002
	buffer_load_dword v18, s[20:23], 0 offen offset:448 lds    // 000000004140: E05111C0 80050012
	s_add_u32 m0, 0x540, s37                                   // 000000004148: 807C25FF 00000540
	buffer_load_dword v19, s[20:23], 0 offen offset:448 lds    // 000000004150: E05111C0 80050013
	s_add_u32 m0, 0x600, s36                                   // 000000004158: 807C24FF 00000600
	buffer_load_dword v18, s[20:23], 0 offen offset:512 lds    // 000000004160: E0511200 80050012
	s_add_u32 m0, 0x600, s37                                   // 000000004168: 807C25FF 00000600
	s_waitcnt lgkmcnt(0)                                       // 000000004170: BF8CC07F
	ds_read_b128 a[72:75], v7 offset:37120                     // 000000004174: DBFE9100 48000007
	ds_read_b128 a[76:79], v7 offset:38144                     // 00000000417C: DBFE9500 4C000007
	v_max3_f32 v24, v20, v21, v24                              // 000000004184: D1D30018 04622B14
	v_max3_f32 v24, v22, v23, v24                              // 00000000418C: D1D30018 04622F16
	ds_read_b128 a[80:83], v7 offset:39168                     // 000000004194: DBFE9900 50000007
	ds_read_b128 a[84:87], v7 offset:40192                     // 00000000419C: DBFE9D00 54000007
	v_mov_b32_e32 v25, 0xff7fffff                              // 0000000041A4: 7E3202FF FF7FFFFF
	v_cmp_eq_u32_e64 s[38:39], v25, v12                        // 0000000041AC: D0CA0026 00021919
	v_max_f32_e32 v20, v24, v12                                // 0000000041B4: 16281918
	v_sub_f32_e32 v16, v12, v20                                // 0000000041B8: 0420290C
	v_cndmask_b32_e64 v16, v16, 0, s[38:39]                    // 0000000041BC: D1000010 00990110
	v_mov_b32_e32 v12, v20                                     // 0000000041C4: 7E180314
	buffer_load_dword v19, s[20:23], 0 offen offset:512 lds    // 0000000041C8: E0511200 80050013
	s_add_u32 m0, 0x6c0, s36                                   // 0000000041D0: 807C24FF 000006C0
	ds_read_b128 a[88:91], v7 offset:41216                     // 0000000041D8: DBFEA100 58000007
	ds_read_b128 a[92:95], v7 offset:42240                     // 0000000041E0: DBFEA500 5C000007
	v_mul_f32_e32 v21, s5, v20                                 // 0000000041E8: 0A2A2805
	v_mul_f32_e32 v16, s5, v16                                 // 0000000041EC: 0A202005
	v_exp_f32_e32 v16, v16                                     // 0000000041F0: 7E204110
	v_fma_f32 v40, v40, s5, -v21                               // 0000000041F4: D1CB0028 84540B28
	v_fma_f32 v41, v41, s5, -v21                               // 0000000041FC: D1CB0029 84540B29
	v_fma_f32 v42, v42, s5, -v21                               // 000000004204: D1CB002A 84540B2A
	v_fma_f32 v43, v43, s5, -v21                               // 00000000420C: D1CB002B 84540B2B
	v_fma_f32 v44, v44, s5, -v21                               // 000000004214: D1CB002C 84540B2C
	v_fma_f32 v45, v45, s5, -v21                               // 00000000421C: D1CB002D 84540B2D
	v_fma_f32 v46, v46, s5, -v21                               // 000000004224: D1CB002E 84540B2E
	v_fma_f32 v47, v47, s5, -v21                               // 00000000422C: D1CB002F 84540B2F
	ds_read_b128 a[96:99], v7 offset:43264                     // 000000004234: DBFEA900 60000007
	ds_read_b128 a[100:103], v7 offset:44288                   // 00000000423C: DBFEAD00 64000007
	v_exp_f32_e32 v40, v40                                     // 000000004244: 7E504128
	v_exp_f32_e32 v41, v41                                     // 000000004248: 7E524129
	v_exp_f32_e32 v42, v42                                     // 00000000424C: 7E54412A
	v_exp_f32_e32 v43, v43                                     // 000000004250: 7E56412B
	v_exp_f32_e32 v44, v44                                     // 000000004254: 7E58412C
	v_exp_f32_e32 v45, v45                                     // 000000004258: 7E5A412D
	v_exp_f32_e32 v46, v46                                     // 00000000425C: 7E5C412E
	v_exp_f32_e32 v47, v47                                     // 000000004260: 7E5E412F
	v_mul_f32_e32 v14, v16, v14                                // 000000004264: 0A1C1D10
	v_mov_b32_e32 v22, v40                                     // 000000004268: 7E2C0328
	ds_read_b128 a[104:107], v7 offset:45312                   // 00000000426C: DBFEB100 68000007
	ds_read_b128 a[108:111], v7 offset:46336                   // 000000004274: DBFEB500 6C000007
	v_add_f32_e32 v22, v41, v22                                // 00000000427C: 022C2D29
	v_add_f32_e32 v22, v42, v22                                // 000000004280: 022C2D2A
	v_add_f32_e32 v22, v43, v22                                // 000000004284: 022C2D2B
	v_add_f32_e32 v22, v44, v22                                // 000000004288: 022C2D2C
	v_add_f32_e32 v22, v45, v22                                // 00000000428C: 022C2D2D
	v_add_f32_e32 v22, v46, v22                                // 000000004290: 022C2D2E
	v_add_f32_e32 v22, v47, v22                                // 000000004294: 022C2D2F
	v_add_f32_e32 v14, v22, v14                                // 000000004298: 021C1D16
	ds_read_b128 a[112:115], v7 offset:47360                   // 00000000429C: DBFEB900 70000007
	ds_read_b128 a[116:119], v7 offset:48384                   // 0000000042A4: DBFEBD00 74000007
	v_cvt_pk_fp8_f32 v40, v40, v41                             // 0000000042AC: D2A20028 00025328
	v_cvt_pk_fp8_f32 v40, v42, v43 op_sel:[0,0,1]              // 0000000042B4: D2A24028 0002572A
	v_cvt_pk_fp8_f32 v41, v44, v45                             // 0000000042BC: D2A20029 00025B2C
	v_cvt_pk_fp8_f32 v41, v46, v47 op_sel:[0,0,1]              // 0000000042C4: D2A24029 00025F2E
	s_add_u32 s83, s84, s83                                    // 0000000042CC: 80535354
	ds_read_b128 a[120:123], v7 offset:49408                   // 0000000042D0: DBFEC100 78000007
	ds_read_b128 a[124:127], v7 offset:50432                   // 0000000042D8: DBFEC500 7C000007
	s_nop 0                                                    // 0000000042E0: BF800000
	v_mul_u32_u24_dpp v18, v10, v9 row_newbcast:0 row_mask:0xf bank_mask:0xf// 0000000042E4: 102412FA FF01500A
	v_mul_u32_u24_dpp v19, v10, v9 row_newbcast:8 row_mask:0xf bank_mask:0xf// 0000000042EC: 102612FA FF01580A
	v_add_u32_e32 v18, v18, v1                                 // 0000000042F4: 68240312
	v_add_u32_e32 v19, v19, v1                                 // 0000000042F8: 68260313
	s_mov_b32 m0, s34                                          // 0000000042FC: BEFC0022
	ds_read_b128 a[128:131], v7 offset:51456                   // 000000004300: DBFEC900 80000007
	ds_read_b128 a[132:135], v7 offset:52480                   // 000000004308: DBFECD00 84000007
	v_mov_b32_e32 v22, v16                                     // 000000004310: 7E2C0310
	v_mov_b32_e32 v23, v16                                     // 000000004314: 7E2E0310
	v_pk_mul_f32 v[56:57], v[22:23], v[56:57]                  // 000000004318: D3B14038 18027116
	v_pk_mul_f32 v[58:59], v[22:23], v[58:59]                  // 000000004320: D3B1403A 18027516
	v_pk_mul_f32 v[60:61], v[22:23], v[60:61]                  // 000000004328: D3B1403C 18027916
	v_pk_mul_f32 v[62:63], v[22:23], v[62:63]                  // 000000004330: D3B1403E 18027D16
	v_pk_mul_f32 v[64:65], v[22:23], v[64:65]                  // 000000004338: D3B14040 18028116
	v_pk_mul_f32 v[66:67], v[22:23], v[66:67]                  // 000000004340: D3B14042 18028516
	v_pk_mul_f32 v[68:69], v[22:23], v[68:69]                  // 000000004348: D3B14044 18028916
	v_pk_mul_f32 v[70:71], v[22:23], v[70:71]                  // 000000004350: D3B14046 18028D16
	v_pk_mul_f32 v[72:73], v[22:23], v[72:73]                  // 000000004358: D3B14048 18029116
	v_pk_mul_f32 v[74:75], v[22:23], v[74:75]                  // 000000004360: D3B1404A 18029516
	v_pk_mul_f32 v[76:77], v[22:23], v[76:77]                  // 000000004368: D3B1404C 18029916
	v_pk_mul_f32 v[78:79], v[22:23], v[78:79]                  // 000000004370: D3B1404E 18029D16
	v_pk_mul_f32 v[80:81], v[22:23], v[80:81]                  // 000000004378: D3B14050 1802A116
	v_pk_mul_f32 v[82:83], v[22:23], v[82:83]                  // 000000004380: D3B14052 1802A516
	v_pk_mul_f32 v[84:85], v[22:23], v[84:85]                  // 000000004388: D3B14054 1802A916
	v_pk_mul_f32 v[86:87], v[22:23], v[86:87]                  // 000000004390: D3B14056 1802AD16
	v_pk_mul_f32 v[88:89], v[22:23], v[88:89]                  // 000000004398: D3B14058 1802B116
	v_pk_mul_f32 v[90:91], v[22:23], v[90:91]                  // 0000000043A0: D3B1405A 1802B516
	v_pk_mul_f32 v[92:93], v[22:23], v[92:93]                  // 0000000043A8: D3B1405C 1802B916
	v_pk_mul_f32 v[94:95], v[22:23], v[94:95]                  // 0000000043B0: D3B1405E 1802BD16
	v_pk_mul_f32 v[96:97], v[22:23], v[96:97]                  // 0000000043B8: D3B14060 1802C116
	v_pk_mul_f32 v[98:99], v[22:23], v[98:99]                  // 0000000043C0: D3B14062 1802C516
	v_pk_mul_f32 v[100:101], v[22:23], v[100:101]              // 0000000043C8: D3B14064 1802C916
	v_pk_mul_f32 v[102:103], v[22:23], v[102:103]              // 0000000043D0: D3B14066 1802CD16
	v_pk_mul_f32 v[104:105], v[22:23], v[104:105]              // 0000000043D8: D3B14068 1802D116
	v_pk_mul_f32 v[106:107], v[22:23], v[106:107]              // 0000000043E0: D3B1406A 1802D516
	v_pk_mul_f32 v[108:109], v[22:23], v[108:109]              // 0000000043E8: D3B1406C 1802D916
	v_pk_mul_f32 v[110:111], v[22:23], v[110:111]              // 0000000043F0: D3B1406E 1802DD16
	v_pk_mul_f32 v[112:113], v[22:23], v[112:113]              // 0000000043F8: D3B14070 1802E116
	v_pk_mul_f32 v[114:115], v[22:23], v[114:115]              // 000000004400: D3B14072 1802E516
	v_pk_mul_f32 v[116:117], v[22:23], v[116:117]              // 000000004408: D3B14074 1802E916
	v_pk_mul_f32 v[118:119], v[22:23], v[118:119]              // 000000004410: D3B14076 1802ED16
	v_pk_mul_f32 v[120:121], v[22:23], v[120:121]              // 000000004418: D3B14078 1802F116
	v_pk_mul_f32 v[122:123], v[22:23], v[122:123]              // 000000004420: D3B1407A 1802F516
	v_pk_mul_f32 v[124:125], v[22:23], v[124:125]              // 000000004428: D3B1407C 1802F916
	v_pk_mul_f32 v[126:127], v[22:23], v[126:127]              // 000000004430: D3B1407E 1802FD16
	v_pk_mul_f32 v[128:129], v[22:23], v[128:129]              // 000000004438: D3B14080 18030116
	v_pk_mul_f32 v[130:131], v[22:23], v[130:131]              // 000000004440: D3B14082 18030516
	v_pk_mul_f32 v[132:133], v[22:23], v[132:133]              // 000000004448: D3B14084 18030916
	v_pk_mul_f32 v[134:135], v[22:23], v[134:135]              // 000000004450: D3B14086 18030D16
	v_pk_mul_f32 v[136:137], v[22:23], v[136:137]              // 000000004458: D3B14088 18031116
	v_pk_mul_f32 v[138:139], v[22:23], v[138:139]              // 000000004460: D3B1408A 18031516
	v_pk_mul_f32 v[140:141], v[22:23], v[140:141]              // 000000004468: D3B1408C 18031916
	v_pk_mul_f32 v[142:143], v[22:23], v[142:143]              // 000000004470: D3B1408E 18031D16
	v_pk_mul_f32 v[144:145], v[22:23], v[144:145]              // 000000004478: D3B14090 18032116
	v_pk_mul_f32 v[146:147], v[22:23], v[146:147]              // 000000004480: D3B14092 18032516
	v_pk_mul_f32 v[148:149], v[22:23], v[148:149]              // 000000004488: D3B14094 18032916
	v_pk_mul_f32 v[150:151], v[22:23], v[150:151]              // 000000004490: D3B14096 18032D16
	v_pk_mul_f32 v[152:153], v[22:23], v[152:153]              // 000000004498: D3B14098 18033116
	v_pk_mul_f32 v[154:155], v[22:23], v[154:155]              // 0000000044A0: D3B1409A 18033516
	v_pk_mul_f32 v[156:157], v[22:23], v[156:157]              // 0000000044A8: D3B1409C 18033916
	v_pk_mul_f32 v[158:159], v[22:23], v[158:159]              // 0000000044B0: D3B1409E 18033D16
	v_pk_mul_f32 v[160:161], v[22:23], v[160:161]              // 0000000044B8: D3B140A0 18034116
	v_pk_mul_f32 v[162:163], v[22:23], v[162:163]              // 0000000044C0: D3B140A2 18034516
	v_pk_mul_f32 v[164:165], v[22:23], v[164:165]              // 0000000044C8: D3B140A4 18034916
	v_pk_mul_f32 v[166:167], v[22:23], v[166:167]              // 0000000044D0: D3B140A6 18034D16
	v_pk_mul_f32 v[168:169], v[22:23], v[168:169]              // 0000000044D8: D3B140A8 18035116
	v_pk_mul_f32 v[170:171], v[22:23], v[170:171]              // 0000000044E0: D3B140AA 18035516
	v_pk_mul_f32 v[172:173], v[22:23], v[172:173]              // 0000000044E8: D3B140AC 18035916
	v_pk_mul_f32 v[174:175], v[22:23], v[174:175]              // 0000000044F0: D3B140AE 18035D16
	v_pk_mul_f32 v[176:177], v[22:23], v[176:177]              // 0000000044F8: D3B140B0 18036116
	v_pk_mul_f32 v[178:179], v[22:23], v[178:179]              // 000000004500: D3B140B2 18036516
	v_pk_mul_f32 v[180:181], v[22:23], v[180:181]              // 000000004508: D3B140B4 18036916
	v_pk_mul_f32 v[182:183], v[22:23], v[182:183]              // 000000004510: D3B140B6 18036D16
	s_waitcnt lgkmcnt(0)                                       // 000000004518: BF8CC07F
	s_waitcnt vmcnt(18)                                        // 00000000451C: BF8C4F72
	s_barrier                                                  // 000000004520: BF8A0000
	v_mfma_f32_16x16x32_fp8_fp8 v[56:59], a[72:73], v[40:41], v[56:59]// 000000004524: D3F30038 0CE25148
	v_mfma_f32_16x16x32_fp8_fp8 v[60:63], a[74:75], v[40:41], v[60:63]// 00000000452C: D3F3003C 0CF2514A
	ds_read_b32 v20, v5                                        // 000000004534: D86C0000 14000005
	ds_read_b32 v21, v5 offset:4640                            // 00000000453C: D86C1220 15000005
	ds_read_b32 v22, v5 offset:9280                            // 000000004544: D86C2440 16000005
	ds_read_b32 v23, v5 offset:13920                           // 00000000454C: D86C3660 17000005
	v_mfma_f32_16x16x32_fp8_fp8 v[64:67], a[76:77], v[40:41], v[64:67]// 000000004554: D3F30040 0D02514C
	v_mfma_f32_16x16x32_fp8_fp8 v[68:71], a[78:79], v[40:41], v[68:71]// 00000000455C: D3F30044 0D12514E
	ds_read_b32 v24, v5 offset:128                             // 000000004564: D86C0080 18000005
	ds_read_b32 v25, v5 offset:4768                            // 00000000456C: D86C12A0 19000005
	ds_read_b32 v26, v5 offset:9408                            // 000000004574: D86C24C0 1A000005
	ds_read_b32 v27, v5 offset:14048                           // 00000000457C: D86C36E0 1B000005
	v_mfma_f32_16x16x32_fp8_fp8 v[72:75], a[80:81], v[40:41], v[72:75]// 000000004584: D3F30048 0D225150
	v_mfma_f32_16x16x32_fp8_fp8 v[76:79], a[82:83], v[40:41], v[76:79]// 00000000458C: D3F3004C 0D325152
	v_mfma_f32_16x16x32_fp8_fp8 v[80:83], a[84:85], v[40:41], v[80:83]// 000000004594: D3F30050 0D425154
	v_mfma_f32_16x16x32_fp8_fp8 v[84:87], a[86:87], v[40:41], v[84:87]// 00000000459C: D3F30054 0D525156
	v_mfma_f32_16x16x32_fp8_fp8 v[88:91], a[88:89], v[40:41], v[88:91]// 0000000045A4: D3F30058 0D625158
	v_mfma_f32_16x16x32_fp8_fp8 v[92:95], a[90:91], v[40:41], v[92:95]// 0000000045AC: D3F3005C 0D72515A
	s_waitcnt lgkmcnt(0)                                       // 0000000045B4: BF8CC07F
	v_perm_b32 v32, v22, v20, s52                              // 0000000045B8: D1ED0020 00D22916
	v_perm_b32 v33, v22, v20, s53                              // 0000000045C0: D1ED0021 00D62916
	v_perm_b32 v34, v23, v21, s52                              // 0000000045C8: D1ED0022 00D22B17
	v_perm_b32 v35, v23, v21, s53                              // 0000000045D0: D1ED0023 00D62B17
	v_perm_b32 v28, v34, v32, s54                              // 0000000045D8: D1ED001C 00DA4122
	v_perm_b32 v36, v34, v32, s55                              // 0000000045E0: D1ED0024 00DE4122
	v_perm_b32 v30, v35, v33, s54                              // 0000000045E8: D1ED001E 00DA4323
	v_perm_b32 v38, v35, v33, s55                              // 0000000045F0: D1ED0026 00DE4323
	v_perm_b32 v32, v26, v24, s52                              // 0000000045F8: D1ED0020 00D2311A
	v_perm_b32 v33, v26, v24, s53                              // 000000004600: D1ED0021 00D6311A
	v_perm_b32 v34, v27, v25, s52                              // 000000004608: D1ED0022 00D2331B
	v_perm_b32 v35, v27, v25, s53                              // 000000004610: D1ED0023 00D6331B
	v_perm_b32 v29, v34, v32, s54                              // 000000004618: D1ED001D 00DA4122
	v_perm_b32 v37, v34, v32, s55                              // 000000004620: D1ED0025 00DE4122
	v_perm_b32 v31, v35, v33, s54                              // 000000004628: D1ED001F 00DA4323
	v_perm_b32 v39, v35, v33, s55                              // 000000004630: D1ED0027 00DE4323
	v_mfma_f32_16x16x32_fp8_fp8 v[96:99], a[92:93], v[40:41], v[96:99]// 000000004638: D3F30060 0D82515C
	v_mfma_f32_16x16x32_fp8_fp8 v[100:103], a[94:95], v[40:41], v[100:103]// 000000004640: D3F30064 0D92515E
	ds_write_b128 v6, v[28:31] offset:37120                    // 000000004648: D9BE9100 00001C06
	v_mfma_f32_16x16x32_fp8_fp8 v[104:107], a[96:97], v[40:41], v[104:107]// 000000004650: D3F30068 0DA25160
	v_mfma_f32_16x16x32_fp8_fp8 v[108:111], a[98:99], v[40:41], v[108:111]// 000000004658: D3F3006C 0DB25162
	v_mfma_f32_16x16x32_fp8_fp8 v[112:115], a[100:101], v[40:41], v[112:115]// 000000004660: D3F30070 0DC25164
	v_mfma_f32_16x16x32_fp8_fp8 v[116:119], a[102:103], v[40:41], v[116:119]// 000000004668: D3F30074 0DD25166
	ds_write_b128 v6, v[36:39] offset:38144                    // 000000004670: D9BE9500 00002406
	v_mfma_f32_16x16x32_fp8_fp8 v[120:123], a[104:105], v[40:41], v[120:123]// 000000004678: D3F30078 0DE25168
	v_mfma_f32_16x16x32_fp8_fp8 v[124:127], a[106:107], v[40:41], v[124:127]// 000000004680: D3F3007C 0DF2516A
	v_mfma_f32_16x16x32_fp8_fp8 v[128:131], a[108:109], v[40:41], v[128:131]// 000000004688: D3F30080 0E02516C
	v_mfma_f32_16x16x32_fp8_fp8 v[132:135], a[110:111], v[40:41], v[132:135]// 000000004690: D3F30084 0E12516E
	ds_read_b32 v20, v5 offset:1024                            // 000000004698: D86C0400 14000005
	ds_read_b32 v21, v5 offset:5664                            // 0000000046A0: D86C1620 15000005
	ds_read_b32 v22, v5 offset:10304                           // 0000000046A8: D86C2840 16000005
	ds_read_b32 v23, v5 offset:14944                           // 0000000046B0: D86C3A60 17000005
	v_mfma_f32_16x16x32_fp8_fp8 v[136:139], a[112:113], v[40:41], v[136:139]// 0000000046B8: D3F30088 0E225170
	v_mfma_f32_16x16x32_fp8_fp8 v[140:143], a[114:115], v[40:41], v[140:143]// 0000000046C0: D3F3008C 0E325172
	ds_read_b32 v24, v5 offset:1152                            // 0000000046C8: D86C0480 18000005
	ds_read_b32 v25, v5 offset:5792                            // 0000000046D0: D86C16A0 19000005
	ds_read_b32 v26, v5 offset:10432                           // 0000000046D8: D86C28C0 1A000005
	ds_read_b32 v27, v5 offset:15072                           // 0000000046E0: D86C3AE0 1B000005
	v_mfma_f32_16x16x32_fp8_fp8 v[144:147], a[116:117], v[40:41], v[144:147]// 0000000046E8: D3F30090 0E425174
	v_mfma_f32_16x16x32_fp8_fp8 v[148:151], a[118:119], v[40:41], v[148:151]// 0000000046F0: D3F30094 0E525176
	ds_read_b128 a[72:75], v4                                  // 0000000046F8: DBFE0000 48000004
	ds_read_b128 a[76:79], v4 offset:256                       // 000000004700: DBFE0100 4C000004
	v_mfma_f32_16x16x32_fp8_fp8 v[152:155], a[120:121], v[40:41], v[152:155]// 000000004708: D3F30098 0E625178
	v_mfma_f32_16x16x32_fp8_fp8 v[156:159], a[122:123], v[40:41], v[156:159]// 000000004710: D3F3009C 0E72517A
	ds_read_b128 a[80:83], v4 offset:512                       // 000000004718: DBFE0200 50000004
	ds_read_b128 a[84:87], v4 offset:768                       // 000000004720: DBFE0300 54000004
	v_mfma_f32_16x16x32_fp8_fp8 v[160:163], a[124:125], v[40:41], v[160:163]// 000000004728: D3F300A0 0E82517C
	v_mfma_f32_16x16x32_fp8_fp8 v[164:167], a[126:127], v[40:41], v[164:167]// 000000004730: D3F300A4 0E92517E
	ds_read_b128 a[88:91], v4 offset:1024                      // 000000004738: DBFE0400 58000004
	ds_read_b128 a[92:95], v4 offset:1280                      // 000000004740: DBFE0500 5C000004
	v_mfma_f32_16x16x32_fp8_fp8 v[168:171], a[128:129], v[40:41], v[168:171]// 000000004748: D3F300A8 0EA25180
	v_mfma_f32_16x16x32_fp8_fp8 v[172:175], a[130:131], v[40:41], v[172:175]// 000000004750: D3F300AC 0EB25182
	ds_read_b128 a[96:99], v4 offset:1536                      // 000000004758: DBFE0600 60000004
	ds_read_b128 a[100:103], v4 offset:1792                    // 000000004760: DBFE0700 64000004
	v_mfma_f32_16x16x32_fp8_fp8 v[176:179], a[132:133], v[40:41], v[176:179]// 000000004768: D3F300B0 0EC25184
	v_mfma_f32_16x16x32_fp8_fp8 v[180:183], a[134:135], v[40:41], v[180:183]// 000000004770: D3F300B4 0ED25186
	s_nop 0                                                    // 000000004778: BF800000
	s_addk_i32 s70, 0x1                                        // 00000000477C: B7460001
	s_cmp_lt_i32 s70, s71                                      // 000000004780: BF044746
	s_cbranch_scc0 label_0923                                  // 000000004784: BF840001
	s_branch label_03DF                                        // 000000004788: BF82FABC

000000000000478c <label_0923>:
	s_nop 0                                                    // 00000000478C: BF800000
	s_nop 0                                                    // 000000004790: BF800000
	s_branch label_0E6B                                        // 000000004794: BF820545

0000000000004798 <label_0926>:
	s_waitcnt lgkmcnt(6)                                       // 000000004798: BF8CC67F
	v_mfma_f32_16x16x32_fp8_fp8 v[40:43], a[72:73], a[0:1], 0  // 00000000479C: D3F30028 1A020148
	buffer_load_dword v10, v8, s[24:27], 0 offen               // 0000000047A4: E0501000 80060A08
	v_mfma_f32_16x16x32_fp8_fp8 v[40:43], a[74:75], a[2:3], v[40:43]// 0000000047AC: D3F30028 1CA2054A
	ds_read_b128 a[104:107], v4 offset:2048                    // 0000000047B4: DBFE0800 68000004
	ds_read_b128 a[108:111], v4 offset:128                     // 0000000047BC: DBFE0080 6C000004
	v_mfma_f32_16x16x32_fp8_fp8 v[40:43], a[76:77], a[4:5], v[40:43]// 0000000047C4: D3F30028 1CA2094C
	v_mfma_f32_16x16x32_fp8_fp8 v[40:43], a[78:79], a[6:7], v[40:43]// 0000000047CC: D3F30028 1CA20D4E
	v_mfma_f32_16x16x32_fp8_fp8 v[40:43], a[80:81], a[8:9], v[40:43]// 0000000047D4: D3F30028 1CA21150
	v_mfma_f32_16x16x32_fp8_fp8 v[40:43], a[82:83], a[10:11], v[40:43]// 0000000047DC: D3F30028 1CA21552
	ds_read_b128 a[112:115], v4 offset:384                     // 0000000047E4: DBFE0180 70000004
	ds_read_b128 a[116:119], v4 offset:640                     // 0000000047EC: DBFE0280 74000004
	v_mfma_f32_16x16x32_fp8_fp8 v[40:43], a[84:85], a[12:13], v[40:43]// 0000000047F4: D3F30028 1CA21954
	v_mfma_f32_16x16x32_fp8_fp8 v[40:43], a[86:87], a[14:15], v[40:43]// 0000000047FC: D3F30028 1CA21D56
	s_waitcnt lgkmcnt(6)                                       // 000000004804: BF8CC67F
	v_mfma_f32_16x16x32_fp8_fp8 v[40:43], a[88:89], a[16:17], v[40:43]// 000000004808: D3F30028 1CA22158
	v_mfma_f32_16x16x32_fp8_fp8 v[40:43], a[90:91], a[18:19], v[40:43]// 000000004810: D3F30028 1CA2255A
	ds_read_b128 a[120:123], v4 offset:896                     // 000000004818: DBFE0380 78000004
	ds_read_b128 a[124:127], v4 offset:1152                    // 000000004820: DBFE0480 7C000004
	v_mfma_f32_16x16x32_fp8_fp8 v[40:43], a[92:93], a[20:21], v[40:43]// 000000004828: D3F30028 1CA2295C
	v_mfma_f32_16x16x32_fp8_fp8 v[40:43], a[94:95], a[22:23], v[40:43]// 000000004830: D3F30028 1CA22D5E
	v_mfma_f32_16x16x32_fp8_fp8 v[40:43], a[96:97], a[24:25], v[40:43]// 000000004838: D3F30028 1CA23160
	v_mfma_f32_16x16x32_fp8_fp8 v[40:43], a[98:99], a[26:27], v[40:43]// 000000004840: D3F30028 1CA23562
	ds_read_b128 a[128:131], v4 offset:1408                    // 000000004848: DBFE0580 80000004
	ds_read_b128 a[132:135], v4 offset:1664                    // 000000004850: DBFE0680 84000004
	v_mfma_f32_16x16x32_fp8_fp8 v[40:43], a[100:101], a[28:29], v[40:43]// 000000004858: D3F30028 1CA23964
	v_mfma_f32_16x16x32_fp8_fp8 v[40:43], a[102:103], a[30:31], v[40:43]// 000000004860: D3F30028 1CA23D66
	s_waitcnt lgkmcnt(6)                                       // 000000004868: BF8CC67F
	s_barrier                                                  // 00000000486C: BF8A0000
	v_mfma_f32_16x16x32_fp8_fp8 v[40:43], a[104:105], a[32:33], v[40:43]// 000000004870: D3F30028 1CA24168
	v_mfma_f32_16x16x32_fp8_fp8 v[40:43], a[106:107], a[34:35], v[40:43]// 000000004878: D3F30028 1CA2456A
	ds_read_b128 a[136:139], v4 offset:1920                    // 000000004880: DBFE0780 88000004
	ds_read_b128 a[140:143], v4 offset:2176                    // 000000004888: DBFE0880 8C000004
	v_mfma_f32_16x16x32_fp8_fp8 v[44:47], a[108:109], a[0:1], 0// 000000004890: D3F3002C 1A02016C
	buffer_load_dword v18, s[20:23], 0 offen lds               // 000000004898: E0511000 80050012
	s_add_u32 m0, 0, s35                                       // 0000000048A0: 807C2380
	v_mfma_f32_16x16x32_fp8_fp8 v[44:47], a[110:111], a[2:3], v[44:47]// 0000000048A4: D3F3002C 1CB2056E
	v_perm_b32 v32, v22, v20, s52                              // 0000000048AC: D1ED0020 00D22916
	v_perm_b32 v33, v22, v20, s53                              // 0000000048B4: D1ED0021 00D62916
	v_perm_b32 v34, v23, v21, s52                              // 0000000048BC: D1ED0022 00D22B17
	v_perm_b32 v35, v23, v21, s53                              // 0000000048C4: D1ED0023 00D62B17
	v_perm_b32 v28, v34, v32, s54                              // 0000000048CC: D1ED001C 00DA4122
	v_perm_b32 v36, v34, v32, s55                              // 0000000048D4: D1ED0024 00DE4122
	v_perm_b32 v30, v35, v33, s54                              // 0000000048DC: D1ED001E 00DA4323
	v_perm_b32 v38, v35, v33, s55                              // 0000000048E4: D1ED0026 00DE4323
	v_mfma_f32_16x16x32_fp8_fp8 v[44:47], a[112:113], a[4:5], v[44:47]// 0000000048EC: D3F3002C 1CB20970
	buffer_load_dword v19, s[20:23], 0 offen lds               // 0000000048F4: E0511000 80050013
	s_add_u32 m0, 0xc0, s34                                    // 0000000048FC: 807C22FF 000000C0
	v_mfma_f32_16x16x32_fp8_fp8 v[44:47], a[114:115], a[6:7], v[44:47]// 000000004904: D3F3002C 1CB20D72
	v_perm_b32 v32, v26, v24, s52                              // 00000000490C: D1ED0020 00D2311A
	v_perm_b32 v33, v26, v24, s53                              // 000000004914: D1ED0021 00D6311A
	v_perm_b32 v34, v27, v25, s52                              // 00000000491C: D1ED0022 00D2331B
	v_perm_b32 v35, v27, v25, s53                              // 000000004924: D1ED0023 00D6331B
	v_perm_b32 v29, v34, v32, s54                              // 00000000492C: D1ED001D 00DA4122
	v_perm_b32 v37, v34, v32, s55                              // 000000004934: D1ED0025 00DE4122
	v_perm_b32 v31, v35, v33, s54                              // 00000000493C: D1ED001F 00DA4323
	v_perm_b32 v39, v35, v33, s55                              // 000000004944: D1ED0027 00DE4323
	v_mfma_f32_16x16x32_fp8_fp8 v[44:47], a[116:117], a[8:9], v[44:47]// 00000000494C: D3F3002C 1CB21174
	buffer_load_dword v18, s[20:23], 0 offen offset:64 lds     // 000000004954: E0511040 80050012
	s_add_u32 m0, 0xc0, s35                                    // 00000000495C: 807C23FF 000000C0
	v_mfma_f32_16x16x32_fp8_fp8 v[44:47], a[118:119], a[10:11], v[44:47]// 000000004964: D3F3002C 1CB21576
	ds_write_b128 v6, v[28:31] offset:45312                    // 00000000496C: D9BEB100 00001C06
	s_waitcnt lgkmcnt(1)                                       // 000000004974: BF8CC17F
	v_mfma_f32_16x16x32_fp8_fp8 v[44:47], a[120:121], a[12:13], v[44:47]// 000000004978: D3F3002C 1CB21978
	buffer_load_dword v19, s[20:23], 0 offen offset:64 lds     // 000000004980: E0511040 80050013
	s_add_u32 m0, 0x180, s34                                   // 000000004988: 807C22FF 00000180
	v_mfma_f32_16x16x32_fp8_fp8 v[44:47], a[122:123], a[14:15], v[44:47]// 000000004990: D3F3002C 1CB21D7A
	v_mfma_f32_16x16x32_fp8_fp8 v[44:47], a[124:125], a[16:17], v[44:47]// 000000004998: D3F3002C 1CB2217C
	buffer_load_dword v18, s[20:23], 0 offen offset:128 lds    // 0000000049A0: E0511080 80050012
	s_add_u32 m0, 0x180, s35                                   // 0000000049A8: 807C23FF 00000180
	v_mfma_f32_16x16x32_fp8_fp8 v[44:47], a[126:127], a[18:19], v[44:47]// 0000000049B0: D3F3002C 1CB2257E
	v_mfma_f32_16x16x32_fp8_fp8 v[44:47], a[128:129], a[20:21], v[44:47]// 0000000049B8: D3F3002C 1CB22980
	buffer_load_dword v19, s[20:23], 0 offen offset:128 lds    // 0000000049C0: E0511080 80050013
	s_add_u32 m0, 0x240, s34                                   // 0000000049C8: 807C22FF 00000240
	v_mfma_f32_16x16x32_fp8_fp8 v[44:47], a[130:131], a[22:23], v[44:47]// 0000000049D0: D3F3002C 1CB22D82
	v_mfma_f32_16x16x32_fp8_fp8 v[44:47], a[132:133], a[24:25], v[44:47]// 0000000049D8: D3F3002C 1CB23184
	buffer_load_dword v18, s[20:23], 0 offen offset:192 lds    // 0000000049E0: E05110C0 80050012
	s_add_u32 m0, 0x240, s35                                   // 0000000049E8: 807C23FF 00000240
	v_mfma_f32_16x16x32_fp8_fp8 v[44:47], a[134:135], a[26:27], v[44:47]// 0000000049F0: D3F3002C 1CB23586
	ds_write_b128 v6, v[36:39] offset:46336                    // 0000000049F8: D9BEB500 00002406
	v_mfma_f32_16x16x32_fp8_fp8 v[44:47], a[136:137], a[28:29], v[44:47]// 000000004A00: D3F3002C 1CB23988
	buffer_load_dword v19, s[20:23], 0 offen offset:192 lds    // 000000004A08: E05110C0 80050013
	s_add_u32 m0, 0x300, s34                                   // 000000004A10: 807C22FF 00000300
	v_mfma_f32_16x16x32_fp8_fp8 v[44:47], a[138:139], a[30:31], v[44:47]// 000000004A18: D3F3002C 1CB23D8A
	v_mfma_f32_16x16x32_fp8_fp8 v[44:47], a[140:141], a[32:33], v[44:47]// 000000004A20: D3F3002C 1CB2418C
	buffer_load_dword v18, s[20:23], 0 offen offset:256 lds    // 000000004A28: E0511100 80050012
	s_add_u32 m0, 0x300, s35                                   // 000000004A30: 807C23FF 00000300
	v_mfma_f32_16x16x32_fp8_fp8 v[44:47], a[142:143], a[34:35], v[44:47]// 000000004A38: D3F3002C 1CB2458E
	v_add_u32_e32 v8, s73, v8                                  // 000000004A40: 68101049
	s_cmp_le_i32 s83, s82                                      // 000000004A44: BF055253
	s_cbranch_scc1 label_0A0F                                  // 000000004A48: BF85003C
	v_mov_b32_e32 v25, 0xff800000                              // 000000004A4C: 7E3202FF FF800000
	s_add_u32 s57, s82, 0                                      // 000000004A54: 80398052
	v_mov_b32_e32 v24, s57                                     // 000000004A58: 7E300239
	v_add_u32_e32 v24, s7, v24                                 // 000000004A5C: 68303007
	s_sub_u32 s56, s83, 31                                     // 000000004A60: 80B89F53
	v_lshrrev_b32_e32 v20, 4, v0                               // 000000004A64: 20280084
	v_mul_i32_i24_e32 v20, 4, v20                              // 000000004A68: 0C282884
	v_add_u32_e32 v20, s56, v20                                // 000000004A6C: 68282838
	v_add_u32_e32 v21, 1, v20                                  // 000000004A70: 682A2881
	v_add_u32_e32 v22, 2, v20                                  // 000000004A74: 682C2882
	v_add_u32_e32 v23, 3, v20                                  // 000000004A78: 682E2883
	v_cmp_le_u32_e64 s[38:39], v20, v24                        // 000000004A7C: D0CB0026 00023114
	v_add_u32_e32 v20, 16, v20                                 // 000000004A84: 68282890
	s_nop 0                                                    // 000000004A88: BF800000
	v_cndmask_b32_e64 v40, v25, v40, s[38:39]                  // 000000004A8C: D1000028 009A5119
	v_cmp_le_u32_e64 s[38:39], v21, v24                        // 000000004A94: D0CB0026 00023115
	v_add_u32_e32 v21, 16, v21                                 // 000000004A9C: 682A2A90
	s_nop 0                                                    // 000000004AA0: BF800000
	v_cndmask_b32_e64 v41, v25, v41, s[38:39]                  // 000000004AA4: D1000029 009A5319
	v_cmp_le_u32_e64 s[38:39], v22, v24                        // 000000004AAC: D0CB0026 00023116
	v_add_u32_e32 v22, 16, v22                                 // 000000004AB4: 682C2C90
	s_nop 0                                                    // 000000004AB8: BF800000
	v_cndmask_b32_e64 v42, v25, v42, s[38:39]                  // 000000004ABC: D100002A 009A5519
	v_cmp_le_u32_e64 s[38:39], v23, v24                        // 000000004AC4: D0CB0026 00023117
	v_add_u32_e32 v23, 16, v23                                 // 000000004ACC: 682E2E90
	s_nop 0                                                    // 000000004AD0: BF800000
	v_cndmask_b32_e64 v43, v25, v43, s[38:39]                  // 000000004AD4: D100002B 009A5719
	v_cmp_le_u32_e64 s[38:39], v20, v24                        // 000000004ADC: D0CB0026 00023114
	v_add_u32_e32 v20, 16, v20                                 // 000000004AE4: 68282890
	s_nop 0                                                    // 000000004AE8: BF800000
	v_cndmask_b32_e64 v44, v25, v44, s[38:39]                  // 000000004AEC: D100002C 009A5919
	v_cmp_le_u32_e64 s[38:39], v21, v24                        // 000000004AF4: D0CB0026 00023115
	v_add_u32_e32 v21, 16, v21                                 // 000000004AFC: 682A2A90
	s_nop 0                                                    // 000000004B00: BF800000
	v_cndmask_b32_e64 v45, v25, v45, s[38:39]                  // 000000004B04: D100002D 009A5B19
	v_cmp_le_u32_e64 s[38:39], v22, v24                        // 000000004B0C: D0CB0026 00023116
	v_add_u32_e32 v22, 16, v22                                 // 000000004B14: 682C2C90
	s_nop 0                                                    // 000000004B18: BF800000
	v_cndmask_b32_e64 v46, v25, v46, s[38:39]                  // 000000004B1C: D100002E 009A5D19
	v_cmp_le_u32_e64 s[38:39], v23, v24                        // 000000004B24: D0CB0026 00023117
	v_add_u32_e32 v23, 16, v23                                 // 000000004B2C: 682E2E90
	s_nop 0                                                    // 000000004B30: BF800000
	v_cndmask_b32_e64 v47, v25, v47, s[38:39]                  // 000000004B34: D100002F 009A5F19

0000000000004b3c <label_0A0F>:
	buffer_load_dword v19, s[20:23], 0 offen offset:256 lds    // 000000004B3C: E0511100 80050013
	s_add_u32 m0, 0x3c0, s34                                   // 000000004B44: 807C22FF 000003C0
	buffer_load_dword v18, s[20:23], 0 offen offset:320 lds    // 000000004B4C: E0511140 80050012
	s_add_u32 m0, 0x3c0, s35                                   // 000000004B54: 807C23FF 000003C0
	v_max3_f32 v24, v40, v41, v40                              // 000000004B5C: D1D30018 04A25328
	v_max3_f32 v24, v42, v43, v24                              // 000000004B64: D1D30018 0462572A
	v_max3_f32 v24, v44, v45, v24                              // 000000004B6C: D1D30018 04625B2C
	v_max3_f32 v24, v46, v47, v24                              // 000000004B74: D1D30018 04625F2E
	ds_write_b32 v3, v24 offset:53504                          // 000000004B7C: D81AD100 00001803
	buffer_load_dword v19, s[20:23], 0 offen offset:320 lds    // 000000004B84: E0511140 80050013
	s_add_u32 m0, 0x480, s34                                   // 000000004B8C: 807C22FF 00000480
	buffer_load_dword v18, s[20:23], 0 offen offset:384 lds    // 000000004B94: E0511180 80050012
	s_add_u32 m0, 0x480, s35                                   // 000000004B9C: 807C23FF 00000480
	buffer_load_dword v19, s[20:23], 0 offen offset:384 lds    // 000000004BA4: E0511180 80050013
	s_add_u32 m0, 0x540, s34                                   // 000000004BAC: 807C22FF 00000540
	s_waitcnt lgkmcnt(0)                                       // 000000004BB4: BF8CC07F
	ds_read_b32 v20, v2 offset:53504                           // 000000004BB8: D86CD100 14000002
	ds_read_b32 v21, v2 offset:53568                           // 000000004BC0: D86CD140 15000002
	ds_read_b32 v22, v2 offset:53632                           // 000000004BC8: D86CD180 16000002
	ds_read_b32 v23, v2 offset:53696                           // 000000004BD0: D86CD1C0 17000002
	buffer_load_dword v18, s[20:23], 0 offen offset:448 lds    // 000000004BD8: E05111C0 80050012
	s_add_u32 m0, 0x540, s35                                   // 000000004BE0: 807C23FF 00000540
	buffer_load_dword v19, s[20:23], 0 offen offset:448 lds    // 000000004BE8: E05111C0 80050013
	s_add_u32 m0, 0x600, s34                                   // 000000004BF0: 807C22FF 00000600
	buffer_load_dword v18, s[20:23], 0 offen offset:512 lds    // 000000004BF8: E0511200 80050012
	s_add_u32 m0, 0x600, s35                                   // 000000004C00: 807C23FF 00000600
	s_waitcnt lgkmcnt(0)                                       // 000000004C08: BF8CC07F
	ds_read_b128 a[72:75], v7 offset:37120                     // 000000004C0C: DBFE9100 48000007
	ds_read_b128 a[76:79], v7 offset:38144                     // 000000004C14: DBFE9500 4C000007
	v_max3_f32 v24, v20, v21, v24                              // 000000004C1C: D1D30018 04622B14
	v_max3_f32 v24, v22, v23, v24                              // 000000004C24: D1D30018 04622F16
	ds_read_b128 a[80:83], v7 offset:39168                     // 000000004C2C: DBFE9900 50000007
	ds_read_b128 a[84:87], v7 offset:40192                     // 000000004C34: DBFE9D00 54000007
	v_mov_b32_e32 v25, 0xff7fffff                              // 000000004C3C: 7E3202FF FF7FFFFF
	v_cmp_eq_u32_e64 s[38:39], v25, v12                        // 000000004C44: D0CA0026 00021919
	v_max_f32_e32 v20, v24, v12                                // 000000004C4C: 16281918
	v_sub_f32_e32 v16, v12, v20                                // 000000004C50: 0420290C
	v_cndmask_b32_e64 v16, v16, 0, s[38:39]                    // 000000004C54: D1000010 00990110
	v_mov_b32_e32 v12, v20                                     // 000000004C5C: 7E180314
	buffer_load_dword v19, s[20:23], 0 offen offset:512 lds    // 000000004C60: E0511200 80050013
	s_add_u32 m0, 0x6c0, s34                                   // 000000004C68: 807C22FF 000006C0
	ds_read_b128 a[88:91], v7 offset:41216                     // 000000004C70: DBFEA100 58000007
	ds_read_b128 a[92:95], v7 offset:42240                     // 000000004C78: DBFEA500 5C000007
	v_mul_f32_e32 v21, s5, v20                                 // 000000004C80: 0A2A2805
	v_mul_f32_e32 v16, s5, v16                                 // 000000004C84: 0A202005
	v_exp_f32_e32 v16, v16                                     // 000000004C88: 7E204110
	v_fma_f32 v40, v40, s5, -v21                               // 000000004C8C: D1CB0028 84540B28
	v_fma_f32 v41, v41, s5, -v21                               // 000000004C94: D1CB0029 84540B29
	v_fma_f32 v42, v42, s5, -v21                               // 000000004C9C: D1CB002A 84540B2A
	v_fma_f32 v43, v43, s5, -v21                               // 000000004CA4: D1CB002B 84540B2B
	v_fma_f32 v44, v44, s5, -v21                               // 000000004CAC: D1CB002C 84540B2C
	v_fma_f32 v45, v45, s5, -v21                               // 000000004CB4: D1CB002D 84540B2D
	v_fma_f32 v46, v46, s5, -v21                               // 000000004CBC: D1CB002E 84540B2E
	v_fma_f32 v47, v47, s5, -v21                               // 000000004CC4: D1CB002F 84540B2F
	ds_read_b128 a[96:99], v7 offset:43264                     // 000000004CCC: DBFEA900 60000007
	ds_read_b128 a[100:103], v7 offset:44288                   // 000000004CD4: DBFEAD00 64000007
	v_exp_f32_e32 v40, v40                                     // 000000004CDC: 7E504128
	v_exp_f32_e32 v41, v41                                     // 000000004CE0: 7E524129
	v_exp_f32_e32 v42, v42                                     // 000000004CE4: 7E54412A
	v_exp_f32_e32 v43, v43                                     // 000000004CE8: 7E56412B
	v_exp_f32_e32 v44, v44                                     // 000000004CEC: 7E58412C
	v_exp_f32_e32 v45, v45                                     // 000000004CF0: 7E5A412D
	v_exp_f32_e32 v46, v46                                     // 000000004CF4: 7E5C412E
	v_exp_f32_e32 v47, v47                                     // 000000004CF8: 7E5E412F
	v_mul_f32_e32 v14, v16, v14                                // 000000004CFC: 0A1C1D10
	v_mov_b32_e32 v22, v40                                     // 000000004D00: 7E2C0328
	ds_read_b128 a[104:107], v7 offset:45312                   // 000000004D04: DBFEB100 68000007
	ds_read_b128 a[108:111], v7 offset:46336                   // 000000004D0C: DBFEB500 6C000007
	v_add_f32_e32 v22, v41, v22                                // 000000004D14: 022C2D29
	v_add_f32_e32 v22, v42, v22                                // 000000004D18: 022C2D2A
	v_add_f32_e32 v22, v43, v22                                // 000000004D1C: 022C2D2B
	v_add_f32_e32 v22, v44, v22                                // 000000004D20: 022C2D2C
	v_add_f32_e32 v22, v45, v22                                // 000000004D24: 022C2D2D
	v_add_f32_e32 v22, v46, v22                                // 000000004D28: 022C2D2E
	v_add_f32_e32 v22, v47, v22                                // 000000004D2C: 022C2D2F
	v_add_f32_e32 v14, v22, v14                                // 000000004D30: 021C1D16
	ds_read_b128 a[112:115], v7 offset:47360                   // 000000004D34: DBFEB900 70000007
	ds_read_b128 a[116:119], v7 offset:48384                   // 000000004D3C: DBFEBD00 74000007
	v_cvt_pk_fp8_f32 v40, v40, v41                             // 000000004D44: D2A20028 00025328
	v_cvt_pk_fp8_f32 v40, v42, v43 op_sel:[0,0,1]              // 000000004D4C: D2A24028 0002572A
	v_cvt_pk_fp8_f32 v41, v44, v45                             // 000000004D54: D2A20029 00025B2C
	v_cvt_pk_fp8_f32 v41, v46, v47 op_sel:[0,0,1]              // 000000004D5C: D2A24029 00025F2E
	s_add_u32 s83, s84, s83                                    // 000000004D64: 80535354
	ds_read_b128 a[120:123], v7 offset:49408                   // 000000004D68: DBFEC100 78000007
	ds_read_b128 a[124:127], v7 offset:50432                   // 000000004D70: DBFEC500 7C000007
	s_nop 0                                                    // 000000004D78: BF800000
	v_mul_u32_u24_dpp v18, v11, v9 row_newbcast:0 row_mask:0xf bank_mask:0xf// 000000004D7C: 102412FA FF01500B
	v_mul_u32_u24_dpp v19, v11, v9 row_newbcast:8 row_mask:0xf bank_mask:0xf// 000000004D84: 102612FA FF01580B
	v_add_u32_e32 v18, v18, v1                                 // 000000004D8C: 68240312
	v_add_u32_e32 v19, v19, v1                                 // 000000004D90: 68260313
	s_mov_b32 m0, s36                                          // 000000004D94: BEFC0024
	ds_read_b128 a[128:131], v7 offset:51456                   // 000000004D98: DBFEC900 80000007
	ds_read_b128 a[132:135], v7 offset:52480                   // 000000004DA0: DBFECD00 84000007
	v_mov_b32_e32 v22, v16                                     // 000000004DA8: 7E2C0310
	v_mov_b32_e32 v23, v16                                     // 000000004DAC: 7E2E0310
	v_pk_mul_f32 v[56:57], v[22:23], v[56:57]                  // 000000004DB0: D3B14038 18027116
	v_pk_mul_f32 v[58:59], v[22:23], v[58:59]                  // 000000004DB8: D3B1403A 18027516
	v_pk_mul_f32 v[60:61], v[22:23], v[60:61]                  // 000000004DC0: D3B1403C 18027916
	v_pk_mul_f32 v[62:63], v[22:23], v[62:63]                  // 000000004DC8: D3B1403E 18027D16
	v_pk_mul_f32 v[64:65], v[22:23], v[64:65]                  // 000000004DD0: D3B14040 18028116
	v_pk_mul_f32 v[66:67], v[22:23], v[66:67]                  // 000000004DD8: D3B14042 18028516
	v_pk_mul_f32 v[68:69], v[22:23], v[68:69]                  // 000000004DE0: D3B14044 18028916
	v_pk_mul_f32 v[70:71], v[22:23], v[70:71]                  // 000000004DE8: D3B14046 18028D16
	v_pk_mul_f32 v[72:73], v[22:23], v[72:73]                  // 000000004DF0: D3B14048 18029116
	v_pk_mul_f32 v[74:75], v[22:23], v[74:75]                  // 000000004DF8: D3B1404A 18029516
	v_pk_mul_f32 v[76:77], v[22:23], v[76:77]                  // 000000004E00: D3B1404C 18029916
	v_pk_mul_f32 v[78:79], v[22:23], v[78:79]                  // 000000004E08: D3B1404E 18029D16
	v_pk_mul_f32 v[80:81], v[22:23], v[80:81]                  // 000000004E10: D3B14050 1802A116
	v_pk_mul_f32 v[82:83], v[22:23], v[82:83]                  // 000000004E18: D3B14052 1802A516
	v_pk_mul_f32 v[84:85], v[22:23], v[84:85]                  // 000000004E20: D3B14054 1802A916
	v_pk_mul_f32 v[86:87], v[22:23], v[86:87]                  // 000000004E28: D3B14056 1802AD16
	v_pk_mul_f32 v[88:89], v[22:23], v[88:89]                  // 000000004E30: D3B14058 1802B116
	v_pk_mul_f32 v[90:91], v[22:23], v[90:91]                  // 000000004E38: D3B1405A 1802B516
	v_pk_mul_f32 v[92:93], v[22:23], v[92:93]                  // 000000004E40: D3B1405C 1802B916
	v_pk_mul_f32 v[94:95], v[22:23], v[94:95]                  // 000000004E48: D3B1405E 1802BD16
	v_pk_mul_f32 v[96:97], v[22:23], v[96:97]                  // 000000004E50: D3B14060 1802C116
	v_pk_mul_f32 v[98:99], v[22:23], v[98:99]                  // 000000004E58: D3B14062 1802C516
	v_pk_mul_f32 v[100:101], v[22:23], v[100:101]              // 000000004E60: D3B14064 1802C916
	v_pk_mul_f32 v[102:103], v[22:23], v[102:103]              // 000000004E68: D3B14066 1802CD16
	v_pk_mul_f32 v[104:105], v[22:23], v[104:105]              // 000000004E70: D3B14068 1802D116
	v_pk_mul_f32 v[106:107], v[22:23], v[106:107]              // 000000004E78: D3B1406A 1802D516
	v_pk_mul_f32 v[108:109], v[22:23], v[108:109]              // 000000004E80: D3B1406C 1802D916
	v_pk_mul_f32 v[110:111], v[22:23], v[110:111]              // 000000004E88: D3B1406E 1802DD16
	v_pk_mul_f32 v[112:113], v[22:23], v[112:113]              // 000000004E90: D3B14070 1802E116
	v_pk_mul_f32 v[114:115], v[22:23], v[114:115]              // 000000004E98: D3B14072 1802E516
	v_pk_mul_f32 v[116:117], v[22:23], v[116:117]              // 000000004EA0: D3B14074 1802E916
	v_pk_mul_f32 v[118:119], v[22:23], v[118:119]              // 000000004EA8: D3B14076 1802ED16
	v_pk_mul_f32 v[120:121], v[22:23], v[120:121]              // 000000004EB0: D3B14078 1802F116
	v_pk_mul_f32 v[122:123], v[22:23], v[122:123]              // 000000004EB8: D3B1407A 1802F516
	v_pk_mul_f32 v[124:125], v[22:23], v[124:125]              // 000000004EC0: D3B1407C 1802F916
	v_pk_mul_f32 v[126:127], v[22:23], v[126:127]              // 000000004EC8: D3B1407E 1802FD16
	v_pk_mul_f32 v[128:129], v[22:23], v[128:129]              // 000000004ED0: D3B14080 18030116
	v_pk_mul_f32 v[130:131], v[22:23], v[130:131]              // 000000004ED8: D3B14082 18030516
	v_pk_mul_f32 v[132:133], v[22:23], v[132:133]              // 000000004EE0: D3B14084 18030916
	v_pk_mul_f32 v[134:135], v[22:23], v[134:135]              // 000000004EE8: D3B14086 18030D16
	v_pk_mul_f32 v[136:137], v[22:23], v[136:137]              // 000000004EF0: D3B14088 18031116
	v_pk_mul_f32 v[138:139], v[22:23], v[138:139]              // 000000004EF8: D3B1408A 18031516
	v_pk_mul_f32 v[140:141], v[22:23], v[140:141]              // 000000004F00: D3B1408C 18031916
	v_pk_mul_f32 v[142:143], v[22:23], v[142:143]              // 000000004F08: D3B1408E 18031D16
	v_pk_mul_f32 v[144:145], v[22:23], v[144:145]              // 000000004F10: D3B14090 18032116
	v_pk_mul_f32 v[146:147], v[22:23], v[146:147]              // 000000004F18: D3B14092 18032516
	v_pk_mul_f32 v[148:149], v[22:23], v[148:149]              // 000000004F20: D3B14094 18032916
	v_pk_mul_f32 v[150:151], v[22:23], v[150:151]              // 000000004F28: D3B14096 18032D16
	v_pk_mul_f32 v[152:153], v[22:23], v[152:153]              // 000000004F30: D3B14098 18033116
	v_pk_mul_f32 v[154:155], v[22:23], v[154:155]              // 000000004F38: D3B1409A 18033516
	v_pk_mul_f32 v[156:157], v[22:23], v[156:157]              // 000000004F40: D3B1409C 18033916
	v_pk_mul_f32 v[158:159], v[22:23], v[158:159]              // 000000004F48: D3B1409E 18033D16
	v_pk_mul_f32 v[160:161], v[22:23], v[160:161]              // 000000004F50: D3B140A0 18034116
	v_pk_mul_f32 v[162:163], v[22:23], v[162:163]              // 000000004F58: D3B140A2 18034516
	v_pk_mul_f32 v[164:165], v[22:23], v[164:165]              // 000000004F60: D3B140A4 18034916
	v_pk_mul_f32 v[166:167], v[22:23], v[166:167]              // 000000004F68: D3B140A6 18034D16
	v_pk_mul_f32 v[168:169], v[22:23], v[168:169]              // 000000004F70: D3B140A8 18035116
	v_pk_mul_f32 v[170:171], v[22:23], v[170:171]              // 000000004F78: D3B140AA 18035516
	v_pk_mul_f32 v[172:173], v[22:23], v[172:173]              // 000000004F80: D3B140AC 18035916
	v_pk_mul_f32 v[174:175], v[22:23], v[174:175]              // 000000004F88: D3B140AE 18035D16
	v_pk_mul_f32 v[176:177], v[22:23], v[176:177]              // 000000004F90: D3B140B0 18036116
	v_pk_mul_f32 v[178:179], v[22:23], v[178:179]              // 000000004F98: D3B140B2 18036516
	v_pk_mul_f32 v[180:181], v[22:23], v[180:181]              // 000000004FA0: D3B140B4 18036916
	v_pk_mul_f32 v[182:183], v[22:23], v[182:183]              // 000000004FA8: D3B140B6 18036D16
	s_waitcnt lgkmcnt(0)                                       // 000000004FB0: BF8CC07F
	s_waitcnt vmcnt(18)                                        // 000000004FB4: BF8C4F72
	s_barrier                                                  // 000000004FB8: BF8A0000
	v_mfma_f32_16x16x32_fp8_fp8 v[56:59], a[72:73], v[40:41], v[56:59]// 000000004FBC: D3F30038 0CE25148
	ds_read_b32 v20, v5 offset:18560                           // 000000004FC4: D86C4880 14000005
	ds_read_b32 v21, v5 offset:23200                           // 000000004FCC: D86C5AA0 15000005
	ds_read_b32 v22, v5 offset:27840                           // 000000004FD4: D86C6CC0 16000005
	ds_read_b32 v23, v5 offset:32480                           // 000000004FDC: D86C7EE0 17000005
	v_mfma_f32_16x16x32_fp8_fp8 v[60:63], a[74:75], v[40:41], v[60:63]// 000000004FE4: D3F3003C 0CF2514A
	v_mfma_f32_16x16x32_fp8_fp8 v[64:67], a[76:77], v[40:41], v[64:67]// 000000004FEC: D3F30040 0D02514C
	ds_read_b32 v24, v5 offset:18688                           // 000000004FF4: D86C4900 18000005
	ds_read_b32 v25, v5 offset:23328                           // 000000004FFC: D86C5B20 19000005
	ds_read_b32 v26, v5 offset:27968                           // 000000005004: D86C6D40 1A000005
	ds_read_b32 v27, v5 offset:32608                           // 00000000500C: D86C7F60 1B000005
	v_mfma_f32_16x16x32_fp8_fp8 v[68:71], a[78:79], v[40:41], v[68:71]// 000000005014: D3F30044 0D12514E
	v_mfma_f32_16x16x32_fp8_fp8 v[72:75], a[80:81], v[40:41], v[72:75]// 00000000501C: D3F30048 0D225150
	v_mfma_f32_16x16x32_fp8_fp8 v[76:79], a[82:83], v[40:41], v[76:79]// 000000005024: D3F3004C 0D325152
	v_mfma_f32_16x16x32_fp8_fp8 v[80:83], a[84:85], v[40:41], v[80:83]// 00000000502C: D3F30050 0D425154
	v_mfma_f32_16x16x32_fp8_fp8 v[84:87], a[86:87], v[40:41], v[84:87]// 000000005034: D3F30054 0D525156
	v_mfma_f32_16x16x32_fp8_fp8 v[88:91], a[88:89], v[40:41], v[88:91]// 00000000503C: D3F30058 0D625158
	s_waitcnt lgkmcnt(0)                                       // 000000005044: BF8CC07F
	v_perm_b32 v32, v22, v20, s52                              // 000000005048: D1ED0020 00D22916
	v_perm_b32 v33, v22, v20, s53                              // 000000005050: D1ED0021 00D62916
	v_perm_b32 v34, v23, v21, s52                              // 000000005058: D1ED0022 00D22B17
	v_perm_b32 v35, v23, v21, s53                              // 000000005060: D1ED0023 00D62B17
	v_perm_b32 v28, v34, v32, s54                              // 000000005068: D1ED001C 00DA4122
	v_perm_b32 v36, v34, v32, s55                              // 000000005070: D1ED0024 00DE4122
	v_perm_b32 v30, v35, v33, s54                              // 000000005078: D1ED001E 00DA4323
	v_perm_b32 v38, v35, v33, s55                              // 000000005080: D1ED0026 00DE4323
	v_perm_b32 v32, v26, v24, s52                              // 000000005088: D1ED0020 00D2311A
	v_perm_b32 v33, v26, v24, s53                              // 000000005090: D1ED0021 00D6311A
	v_perm_b32 v34, v27, v25, s52                              // 000000005098: D1ED0022 00D2331B
	v_perm_b32 v35, v27, v25, s53                              // 0000000050A0: D1ED0023 00D6331B
	v_perm_b32 v29, v34, v32, s54                              // 0000000050A8: D1ED001D 00DA4122
	v_perm_b32 v37, v34, v32, s55                              // 0000000050B0: D1ED0025 00DE4122
	v_perm_b32 v31, v35, v33, s54                              // 0000000050B8: D1ED001F 00DA4323
	v_perm_b32 v39, v35, v33, s55                              // 0000000050C0: D1ED0027 00DE4323
	v_mfma_f32_16x16x32_fp8_fp8 v[92:95], a[90:91], v[40:41], v[92:95]// 0000000050C8: D3F3005C 0D72515A
	v_mfma_f32_16x16x32_fp8_fp8 v[96:99], a[92:93], v[40:41], v[96:99]// 0000000050D0: D3F30060 0D82515C
	ds_write_b128 v6, v[28:31] offset:37120                    // 0000000050D8: D9BE9100 00001C06
	v_mfma_f32_16x16x32_fp8_fp8 v[100:103], a[94:95], v[40:41], v[100:103]// 0000000050E0: D3F30064 0D92515E
	v_mfma_f32_16x16x32_fp8_fp8 v[104:107], a[96:97], v[40:41], v[104:107]// 0000000050E8: D3F30068 0DA25160
	v_mfma_f32_16x16x32_fp8_fp8 v[108:111], a[98:99], v[40:41], v[108:111]// 0000000050F0: D3F3006C 0DB25162
	v_mfma_f32_16x16x32_fp8_fp8 v[112:115], a[100:101], v[40:41], v[112:115]// 0000000050F8: D3F30070 0DC25164
	ds_write_b128 v6, v[36:39] offset:38144                    // 000000005100: D9BE9500 00002406
	v_mfma_f32_16x16x32_fp8_fp8 v[116:119], a[102:103], v[40:41], v[116:119]// 000000005108: D3F30074 0DD25166
	v_mfma_f32_16x16x32_fp8_fp8 v[120:123], a[104:105], v[40:41], v[120:123]// 000000005110: D3F30078 0DE25168
	v_mfma_f32_16x16x32_fp8_fp8 v[124:127], a[106:107], v[40:41], v[124:127]// 000000005118: D3F3007C 0DF2516A
	v_mfma_f32_16x16x32_fp8_fp8 v[128:131], a[108:109], v[40:41], v[128:131]// 000000005120: D3F30080 0E02516C
	ds_read_b32 v20, v5 offset:19584                           // 000000005128: D86C4C80 14000005
	ds_read_b32 v21, v5 offset:24224                           // 000000005130: D86C5EA0 15000005
	ds_read_b32 v22, v5 offset:28864                           // 000000005138: D86C70C0 16000005
	ds_read_b32 v23, v5 offset:33504                           // 000000005140: D86C82E0 17000005
	v_mfma_f32_16x16x32_fp8_fp8 v[132:135], a[110:111], v[40:41], v[132:135]// 000000005148: D3F30084 0E12516E
	v_mfma_f32_16x16x32_fp8_fp8 v[136:139], a[112:113], v[40:41], v[136:139]// 000000005150: D3F30088 0E225170
	ds_read_b32 v24, v5 offset:19712                           // 000000005158: D86C4D00 18000005
	ds_read_b32 v25, v5 offset:24352                           // 000000005160: D86C5F20 19000005
	ds_read_b32 v26, v5 offset:28992                           // 000000005168: D86C7140 1A000005
	ds_read_b32 v27, v5 offset:33632                           // 000000005170: D86C8360 1B000005
	v_mfma_f32_16x16x32_fp8_fp8 v[140:143], a[114:115], v[40:41], v[140:143]// 000000005178: D3F3008C 0E325172
	v_mfma_f32_16x16x32_fp8_fp8 v[144:147], a[116:117], v[40:41], v[144:147]// 000000005180: D3F30090 0E425174
	ds_read_b128 a[72:75], v4 offset:18560                     // 000000005188: DBFE4880 48000004
	ds_read_b128 a[76:79], v4 offset:18816                     // 000000005190: DBFE4980 4C000004
	v_mfma_f32_16x16x32_fp8_fp8 v[148:151], a[118:119], v[40:41], v[148:151]// 000000005198: D3F30094 0E525176
	v_mfma_f32_16x16x32_fp8_fp8 v[152:155], a[120:121], v[40:41], v[152:155]// 0000000051A0: D3F30098 0E625178
	ds_read_b128 a[80:83], v4 offset:19072                     // 0000000051A8: DBFE4A80 50000004
	ds_read_b128 a[84:87], v4 offset:19328                     // 0000000051B0: DBFE4B80 54000004
	v_mfma_f32_16x16x32_fp8_fp8 v[156:159], a[122:123], v[40:41], v[156:159]// 0000000051B8: D3F3009C 0E72517A
	v_mfma_f32_16x16x32_fp8_fp8 v[160:163], a[124:125], v[40:41], v[160:163]// 0000000051C0: D3F300A0 0E82517C
	ds_read_b128 a[88:91], v4 offset:19584                     // 0000000051C8: DBFE4C80 58000004
	ds_read_b128 a[92:95], v4 offset:19840                     // 0000000051D0: DBFE4D80 5C000004
	v_mfma_f32_16x16x32_fp8_fp8 v[164:167], a[126:127], v[40:41], v[164:167]// 0000000051D8: D3F300A4 0E92517E
	v_mfma_f32_16x16x32_fp8_fp8 v[168:171], a[128:129], v[40:41], v[168:171]// 0000000051E0: D3F300A8 0EA25180
	ds_read_b128 a[96:99], v4 offset:20096                     // 0000000051E8: DBFE4E80 60000004
	ds_read_b128 a[100:103], v4 offset:20352                   // 0000000051F0: DBFE4F80 64000004
	v_mfma_f32_16x16x32_fp8_fp8 v[172:175], a[130:131], v[40:41], v[172:175]// 0000000051F8: D3F300AC 0EB25182
	v_mfma_f32_16x16x32_fp8_fp8 v[176:179], a[132:133], v[40:41], v[176:179]// 000000005200: D3F300B0 0EC25184
	v_mfma_f32_16x16x32_fp8_fp8 v[180:183], a[134:135], v[40:41], v[180:183]// 000000005208: D3F300B4 0ED25186
	s_nop 0                                                    // 000000005210: BF800000
	s_addk_i32 s70, 0x1                                        // 000000005214: B7460001
	s_cmp_lt_i32 s70, s71                                      // 000000005218: BF044746
	s_cbranch_scc0 label_0923                                  // 00000000521C: BF84FD5B
	s_waitcnt lgkmcnt(6)                                       // 000000005220: BF8CC67F
	v_mfma_f32_16x16x32_fp8_fp8 v[40:43], a[72:73], a[0:1], 0  // 000000005224: D3F30028 1A020148
	buffer_load_dword v11, v8, s[24:27], 0 offen               // 00000000522C: E0501000 80060B08
	v_mfma_f32_16x16x32_fp8_fp8 v[40:43], a[74:75], a[2:3], v[40:43]// 000000005234: D3F30028 1CA2054A
	ds_read_b128 a[104:107], v4 offset:20608                   // 00000000523C: DBFE5080 68000004
	ds_read_b128 a[108:111], v4 offset:18688                   // 000000005244: DBFE4900 6C000004
	v_mfma_f32_16x16x32_fp8_fp8 v[40:43], a[76:77], a[4:5], v[40:43]// 00000000524C: D3F30028 1CA2094C
	v_mfma_f32_16x16x32_fp8_fp8 v[40:43], a[78:79], a[6:7], v[40:43]// 000000005254: D3F30028 1CA20D4E
	v_mfma_f32_16x16x32_fp8_fp8 v[40:43], a[80:81], a[8:9], v[40:43]// 00000000525C: D3F30028 1CA21150
	v_mfma_f32_16x16x32_fp8_fp8 v[40:43], a[82:83], a[10:11], v[40:43]// 000000005264: D3F30028 1CA21552
	ds_read_b128 a[112:115], v4 offset:18944                   // 00000000526C: DBFE4A00 70000004
	ds_read_b128 a[116:119], v4 offset:19200                   // 000000005274: DBFE4B00 74000004
	v_mfma_f32_16x16x32_fp8_fp8 v[40:43], a[84:85], a[12:13], v[40:43]// 00000000527C: D3F30028 1CA21954
	v_mfma_f32_16x16x32_fp8_fp8 v[40:43], a[86:87], a[14:15], v[40:43]// 000000005284: D3F30028 1CA21D56
	s_waitcnt lgkmcnt(6)                                       // 00000000528C: BF8CC67F
	v_mfma_f32_16x16x32_fp8_fp8 v[40:43], a[88:89], a[16:17], v[40:43]// 000000005290: D3F30028 1CA22158
	v_mfma_f32_16x16x32_fp8_fp8 v[40:43], a[90:91], a[18:19], v[40:43]// 000000005298: D3F30028 1CA2255A
	ds_read_b128 a[120:123], v4 offset:19456                   // 0000000052A0: DBFE4C00 78000004
	ds_read_b128 a[124:127], v4 offset:19712                   // 0000000052A8: DBFE4D00 7C000004
	v_mfma_f32_16x16x32_fp8_fp8 v[40:43], a[92:93], a[20:21], v[40:43]// 0000000052B0: D3F30028 1CA2295C
	v_mfma_f32_16x16x32_fp8_fp8 v[40:43], a[94:95], a[22:23], v[40:43]// 0000000052B8: D3F30028 1CA22D5E
	v_mfma_f32_16x16x32_fp8_fp8 v[40:43], a[96:97], a[24:25], v[40:43]// 0000000052C0: D3F30028 1CA23160
	v_mfma_f32_16x16x32_fp8_fp8 v[40:43], a[98:99], a[26:27], v[40:43]// 0000000052C8: D3F30028 1CA23562
	ds_read_b128 a[128:131], v4 offset:19968                   // 0000000052D0: DBFE4E00 80000004
	ds_read_b128 a[132:135], v4 offset:20224                   // 0000000052D8: DBFE4F00 84000004
	v_mfma_f32_16x16x32_fp8_fp8 v[40:43], a[100:101], a[28:29], v[40:43]// 0000000052E0: D3F30028 1CA23964
	v_mfma_f32_16x16x32_fp8_fp8 v[40:43], a[102:103], a[30:31], v[40:43]// 0000000052E8: D3F30028 1CA23D66
	s_waitcnt lgkmcnt(6)                                       // 0000000052F0: BF8CC67F
	s_barrier                                                  // 0000000052F4: BF8A0000
	v_mfma_f32_16x16x32_fp8_fp8 v[40:43], a[104:105], a[32:33], v[40:43]// 0000000052F8: D3F30028 1CA24168
	v_mfma_f32_16x16x32_fp8_fp8 v[40:43], a[106:107], a[34:35], v[40:43]// 000000005300: D3F30028 1CA2456A
	ds_read_b128 a[136:139], v4 offset:20480                   // 000000005308: DBFE5000 88000004
	ds_read_b128 a[140:143], v4 offset:20736                   // 000000005310: DBFE5100 8C000004
	v_mfma_f32_16x16x32_fp8_fp8 v[44:47], a[108:109], a[0:1], 0// 000000005318: D3F3002C 1A02016C
	buffer_load_dword v18, s[20:23], 0 offen lds               // 000000005320: E0511000 80050012
	s_add_u32 m0, 0, s37                                       // 000000005328: 807C2580
	v_mfma_f32_16x16x32_fp8_fp8 v[44:47], a[110:111], a[2:3], v[44:47]// 00000000532C: D3F3002C 1CB2056E
	v_perm_b32 v32, v22, v20, s52                              // 000000005334: D1ED0020 00D22916
	v_perm_b32 v33, v22, v20, s53                              // 00000000533C: D1ED0021 00D62916
	v_perm_b32 v34, v23, v21, s52                              // 000000005344: D1ED0022 00D22B17
	v_perm_b32 v35, v23, v21, s53                              // 00000000534C: D1ED0023 00D62B17
	v_perm_b32 v28, v34, v32, s54                              // 000000005354: D1ED001C 00DA4122
	v_perm_b32 v36, v34, v32, s55                              // 00000000535C: D1ED0024 00DE4122
	v_perm_b32 v30, v35, v33, s54                              // 000000005364: D1ED001E 00DA4323
	v_perm_b32 v38, v35, v33, s55                              // 00000000536C: D1ED0026 00DE4323
	v_mfma_f32_16x16x32_fp8_fp8 v[44:47], a[112:113], a[4:5], v[44:47]// 000000005374: D3F3002C 1CB20970
	buffer_load_dword v19, s[20:23], 0 offen lds               // 00000000537C: E0511000 80050013
	s_add_u32 m0, 0xc0, s36                                    // 000000005384: 807C24FF 000000C0
	v_mfma_f32_16x16x32_fp8_fp8 v[44:47], a[114:115], a[6:7], v[44:47]// 00000000538C: D3F3002C 1CB20D72
	v_perm_b32 v32, v26, v24, s52                              // 000000005394: D1ED0020 00D2311A
	v_perm_b32 v33, v26, v24, s53                              // 00000000539C: D1ED0021 00D6311A
	v_perm_b32 v34, v27, v25, s52                              // 0000000053A4: D1ED0022 00D2331B
	v_perm_b32 v35, v27, v25, s53                              // 0000000053AC: D1ED0023 00D6331B
	v_perm_b32 v29, v34, v32, s54                              // 0000000053B4: D1ED001D 00DA4122
	v_perm_b32 v37, v34, v32, s55                              // 0000000053BC: D1ED0025 00DE4122
	v_perm_b32 v31, v35, v33, s54                              // 0000000053C4: D1ED001F 00DA4323
	v_perm_b32 v39, v35, v33, s55                              // 0000000053CC: D1ED0027 00DE4323
	v_mfma_f32_16x16x32_fp8_fp8 v[44:47], a[116:117], a[8:9], v[44:47]// 0000000053D4: D3F3002C 1CB21174
	buffer_load_dword v18, s[20:23], 0 offen offset:64 lds     // 0000000053DC: E0511040 80050012
	s_add_u32 m0, 0xc0, s37                                    // 0000000053E4: 807C25FF 000000C0
	v_mfma_f32_16x16x32_fp8_fp8 v[44:47], a[118:119], a[10:11], v[44:47]// 0000000053EC: D3F3002C 1CB21576
	ds_write_b128 v6, v[28:31] offset:45312                    // 0000000053F4: D9BEB100 00001C06
	s_waitcnt lgkmcnt(1)                                       // 0000000053FC: BF8CC17F
	v_mfma_f32_16x16x32_fp8_fp8 v[44:47], a[120:121], a[12:13], v[44:47]// 000000005400: D3F3002C 1CB21978
	buffer_load_dword v19, s[20:23], 0 offen offset:64 lds     // 000000005408: E0511040 80050013
	s_add_u32 m0, 0x180, s36                                   // 000000005410: 807C24FF 00000180
	v_mfma_f32_16x16x32_fp8_fp8 v[44:47], a[122:123], a[14:15], v[44:47]// 000000005418: D3F3002C 1CB21D7A
	v_mfma_f32_16x16x32_fp8_fp8 v[44:47], a[124:125], a[16:17], v[44:47]// 000000005420: D3F3002C 1CB2217C
	buffer_load_dword v18, s[20:23], 0 offen offset:128 lds    // 000000005428: E0511080 80050012
	s_add_u32 m0, 0x180, s37                                   // 000000005430: 807C25FF 00000180
	v_mfma_f32_16x16x32_fp8_fp8 v[44:47], a[126:127], a[18:19], v[44:47]// 000000005438: D3F3002C 1CB2257E
	v_mfma_f32_16x16x32_fp8_fp8 v[44:47], a[128:129], a[20:21], v[44:47]// 000000005440: D3F3002C 1CB22980
	buffer_load_dword v19, s[20:23], 0 offen offset:128 lds    // 000000005448: E0511080 80050013
	s_add_u32 m0, 0x240, s36                                   // 000000005450: 807C24FF 00000240
	v_mfma_f32_16x16x32_fp8_fp8 v[44:47], a[130:131], a[22:23], v[44:47]// 000000005458: D3F3002C 1CB22D82
	v_mfma_f32_16x16x32_fp8_fp8 v[44:47], a[132:133], a[24:25], v[44:47]// 000000005460: D3F3002C 1CB23184
	buffer_load_dword v18, s[20:23], 0 offen offset:192 lds    // 000000005468: E05110C0 80050012
	s_add_u32 m0, 0x240, s37                                   // 000000005470: 807C25FF 00000240
	v_mfma_f32_16x16x32_fp8_fp8 v[44:47], a[134:135], a[26:27], v[44:47]// 000000005478: D3F3002C 1CB23586
	ds_write_b128 v6, v[36:39] offset:46336                    // 000000005480: D9BEB500 00002406
	v_mfma_f32_16x16x32_fp8_fp8 v[44:47], a[136:137], a[28:29], v[44:47]// 000000005488: D3F3002C 1CB23988
	buffer_load_dword v19, s[20:23], 0 offen offset:192 lds    // 000000005490: E05110C0 80050013
	s_add_u32 m0, 0x300, s36                                   // 000000005498: 807C24FF 00000300
	v_mfma_f32_16x16x32_fp8_fp8 v[44:47], a[138:139], a[30:31], v[44:47]// 0000000054A0: D3F3002C 1CB23D8A
	v_mfma_f32_16x16x32_fp8_fp8 v[44:47], a[140:141], a[32:33], v[44:47]// 0000000054A8: D3F3002C 1CB2418C
	buffer_load_dword v18, s[20:23], 0 offen offset:256 lds    // 0000000054B0: E0511100 80050012
	s_add_u32 m0, 0x300, s37                                   // 0000000054B8: 807C25FF 00000300
	v_mfma_f32_16x16x32_fp8_fp8 v[44:47], a[142:143], a[34:35], v[44:47]// 0000000054C0: D3F3002C 1CB2458E
	v_add_u32_e32 v8, s73, v8                                  // 0000000054C8: 68101049
	s_cmp_le_i32 s83, s82                                      // 0000000054CC: BF055253
	s_cbranch_scc1 label_0CB1                                  // 0000000054D0: BF85003C
	v_mov_b32_e32 v25, 0xff800000                              // 0000000054D4: 7E3202FF FF800000
	s_add_u32 s57, s82, 0                                      // 0000000054DC: 80398052
	v_mov_b32_e32 v24, s57                                     // 0000000054E0: 7E300239
	v_add_u32_e32 v24, s7, v24                                 // 0000000054E4: 68303007
	s_sub_u32 s56, s83, 31                                     // 0000000054E8: 80B89F53
	v_lshrrev_b32_e32 v20, 4, v0                               // 0000000054EC: 20280084
	v_mul_i32_i24_e32 v20, 4, v20                              // 0000000054F0: 0C282884
	v_add_u32_e32 v20, s56, v20                                // 0000000054F4: 68282838
	v_add_u32_e32 v21, 1, v20                                  // 0000000054F8: 682A2881
	v_add_u32_e32 v22, 2, v20                                  // 0000000054FC: 682C2882
	v_add_u32_e32 v23, 3, v20                                  // 000000005500: 682E2883
	v_cmp_le_u32_e64 s[38:39], v20, v24                        // 000000005504: D0CB0026 00023114
	v_add_u32_e32 v20, 16, v20                                 // 00000000550C: 68282890
	s_nop 0                                                    // 000000005510: BF800000
	v_cndmask_b32_e64 v40, v25, v40, s[38:39]                  // 000000005514: D1000028 009A5119
	v_cmp_le_u32_e64 s[38:39], v21, v24                        // 00000000551C: D0CB0026 00023115
	v_add_u32_e32 v21, 16, v21                                 // 000000005524: 682A2A90
	s_nop 0                                                    // 000000005528: BF800000
	v_cndmask_b32_e64 v41, v25, v41, s[38:39]                  // 00000000552C: D1000029 009A5319
	v_cmp_le_u32_e64 s[38:39], v22, v24                        // 000000005534: D0CB0026 00023116
	v_add_u32_e32 v22, 16, v22                                 // 00000000553C: 682C2C90
	s_nop 0                                                    // 000000005540: BF800000
	v_cndmask_b32_e64 v42, v25, v42, s[38:39]                  // 000000005544: D100002A 009A5519
	v_cmp_le_u32_e64 s[38:39], v23, v24                        // 00000000554C: D0CB0026 00023117
	v_add_u32_e32 v23, 16, v23                                 // 000000005554: 682E2E90
	s_nop 0                                                    // 000000005558: BF800000
	v_cndmask_b32_e64 v43, v25, v43, s[38:39]                  // 00000000555C: D100002B 009A5719
	v_cmp_le_u32_e64 s[38:39], v20, v24                        // 000000005564: D0CB0026 00023114
	v_add_u32_e32 v20, 16, v20                                 // 00000000556C: 68282890
	s_nop 0                                                    // 000000005570: BF800000
	v_cndmask_b32_e64 v44, v25, v44, s[38:39]                  // 000000005574: D100002C 009A5919
	v_cmp_le_u32_e64 s[38:39], v21, v24                        // 00000000557C: D0CB0026 00023115
	v_add_u32_e32 v21, 16, v21                                 // 000000005584: 682A2A90
	s_nop 0                                                    // 000000005588: BF800000
	v_cndmask_b32_e64 v45, v25, v45, s[38:39]                  // 00000000558C: D100002D 009A5B19
	v_cmp_le_u32_e64 s[38:39], v22, v24                        // 000000005594: D0CB0026 00023116
	v_add_u32_e32 v22, 16, v22                                 // 00000000559C: 682C2C90
	s_nop 0                                                    // 0000000055A0: BF800000
	v_cndmask_b32_e64 v46, v25, v46, s[38:39]                  // 0000000055A4: D100002E 009A5D19
	v_cmp_le_u32_e64 s[38:39], v23, v24                        // 0000000055AC: D0CB0026 00023117
	v_add_u32_e32 v23, 16, v23                                 // 0000000055B4: 682E2E90
	s_nop 0                                                    // 0000000055B8: BF800000
	v_cndmask_b32_e64 v47, v25, v47, s[38:39]                  // 0000000055BC: D100002F 009A5F19

00000000000055c4 <label_0CB1>:
	buffer_load_dword v19, s[20:23], 0 offen offset:256 lds    // 0000000055C4: E0511100 80050013
	s_add_u32 m0, 0x3c0, s36                                   // 0000000055CC: 807C24FF 000003C0
	buffer_load_dword v18, s[20:23], 0 offen offset:320 lds    // 0000000055D4: E0511140 80050012
	s_add_u32 m0, 0x3c0, s37                                   // 0000000055DC: 807C25FF 000003C0
	v_max3_f32 v24, v40, v41, v40                              // 0000000055E4: D1D30018 04A25328
	v_max3_f32 v24, v42, v43, v24                              // 0000000055EC: D1D30018 0462572A
	v_max3_f32 v24, v44, v45, v24                              // 0000000055F4: D1D30018 04625B2C
	v_max3_f32 v24, v46, v47, v24                              // 0000000055FC: D1D30018 04625F2E
	ds_write_b32 v3, v24 offset:53504                          // 000000005604: D81AD100 00001803
	buffer_load_dword v19, s[20:23], 0 offen offset:320 lds    // 00000000560C: E0511140 80050013
	s_add_u32 m0, 0x480, s36                                   // 000000005614: 807C24FF 00000480
	buffer_load_dword v18, s[20:23], 0 offen offset:384 lds    // 00000000561C: E0511180 80050012
	s_add_u32 m0, 0x480, s37                                   // 000000005624: 807C25FF 00000480
	buffer_load_dword v19, s[20:23], 0 offen offset:384 lds    // 00000000562C: E0511180 80050013
	s_add_u32 m0, 0x540, s36                                   // 000000005634: 807C24FF 00000540
	s_waitcnt lgkmcnt(0)                                       // 00000000563C: BF8CC07F
	ds_read_b32 v20, v2 offset:53504                           // 000000005640: D86CD100 14000002
	ds_read_b32 v21, v2 offset:53568                           // 000000005648: D86CD140 15000002
	ds_read_b32 v22, v2 offset:53632                           // 000000005650: D86CD180 16000002
	ds_read_b32 v23, v2 offset:53696                           // 000000005658: D86CD1C0 17000002
	buffer_load_dword v18, s[20:23], 0 offen offset:448 lds    // 000000005660: E05111C0 80050012
	s_add_u32 m0, 0x540, s37                                   // 000000005668: 807C25FF 00000540
	buffer_load_dword v19, s[20:23], 0 offen offset:448 lds    // 000000005670: E05111C0 80050013
	s_add_u32 m0, 0x600, s36                                   // 000000005678: 807C24FF 00000600
	buffer_load_dword v18, s[20:23], 0 offen offset:512 lds    // 000000005680: E0511200 80050012
	s_add_u32 m0, 0x600, s37                                   // 000000005688: 807C25FF 00000600
	s_waitcnt lgkmcnt(0)                                       // 000000005690: BF8CC07F
	ds_read_b128 a[72:75], v7 offset:37120                     // 000000005694: DBFE9100 48000007
	ds_read_b128 a[76:79], v7 offset:38144                     // 00000000569C: DBFE9500 4C000007
	v_max3_f32 v24, v20, v21, v24                              // 0000000056A4: D1D30018 04622B14
	v_max3_f32 v24, v22, v23, v24                              // 0000000056AC: D1D30018 04622F16
	ds_read_b128 a[80:83], v7 offset:39168                     // 0000000056B4: DBFE9900 50000007
	ds_read_b128 a[84:87], v7 offset:40192                     // 0000000056BC: DBFE9D00 54000007
	v_mov_b32_e32 v25, 0xff7fffff                              // 0000000056C4: 7E3202FF FF7FFFFF
	v_cmp_eq_u32_e64 s[38:39], v25, v12                        // 0000000056CC: D0CA0026 00021919
	v_max_f32_e32 v20, v24, v12                                // 0000000056D4: 16281918
	v_sub_f32_e32 v16, v12, v20                                // 0000000056D8: 0420290C
	v_cndmask_b32_e64 v16, v16, 0, s[38:39]                    // 0000000056DC: D1000010 00990110
	v_mov_b32_e32 v12, v20                                     // 0000000056E4: 7E180314
	buffer_load_dword v19, s[20:23], 0 offen offset:512 lds    // 0000000056E8: E0511200 80050013
	s_add_u32 m0, 0x6c0, s36                                   // 0000000056F0: 807C24FF 000006C0
	ds_read_b128 a[88:91], v7 offset:41216                     // 0000000056F8: DBFEA100 58000007
	ds_read_b128 a[92:95], v7 offset:42240                     // 000000005700: DBFEA500 5C000007
	v_mul_f32_e32 v21, s5, v20                                 // 000000005708: 0A2A2805
	v_mul_f32_e32 v16, s5, v16                                 // 00000000570C: 0A202005
	v_exp_f32_e32 v16, v16                                     // 000000005710: 7E204110
	v_fma_f32 v40, v40, s5, -v21                               // 000000005714: D1CB0028 84540B28
	v_fma_f32 v41, v41, s5, -v21                               // 00000000571C: D1CB0029 84540B29
	v_fma_f32 v42, v42, s5, -v21                               // 000000005724: D1CB002A 84540B2A
	v_fma_f32 v43, v43, s5, -v21                               // 00000000572C: D1CB002B 84540B2B
	v_fma_f32 v44, v44, s5, -v21                               // 000000005734: D1CB002C 84540B2C
	v_fma_f32 v45, v45, s5, -v21                               // 00000000573C: D1CB002D 84540B2D
	v_fma_f32 v46, v46, s5, -v21                               // 000000005744: D1CB002E 84540B2E
	v_fma_f32 v47, v47, s5, -v21                               // 00000000574C: D1CB002F 84540B2F
	ds_read_b128 a[96:99], v7 offset:43264                     // 000000005754: DBFEA900 60000007
	ds_read_b128 a[100:103], v7 offset:44288                   // 00000000575C: DBFEAD00 64000007
	v_exp_f32_e32 v40, v40                                     // 000000005764: 7E504128
	v_exp_f32_e32 v41, v41                                     // 000000005768: 7E524129
	v_exp_f32_e32 v42, v42                                     // 00000000576C: 7E54412A
	v_exp_f32_e32 v43, v43                                     // 000000005770: 7E56412B
	v_exp_f32_e32 v44, v44                                     // 000000005774: 7E58412C
	v_exp_f32_e32 v45, v45                                     // 000000005778: 7E5A412D
	v_exp_f32_e32 v46, v46                                     // 00000000577C: 7E5C412E
	v_exp_f32_e32 v47, v47                                     // 000000005780: 7E5E412F
	v_mul_f32_e32 v14, v16, v14                                // 000000005784: 0A1C1D10
	v_mov_b32_e32 v22, v40                                     // 000000005788: 7E2C0328
	ds_read_b128 a[104:107], v7 offset:45312                   // 00000000578C: DBFEB100 68000007
	ds_read_b128 a[108:111], v7 offset:46336                   // 000000005794: DBFEB500 6C000007
	v_add_f32_e32 v22, v41, v22                                // 00000000579C: 022C2D29
	v_add_f32_e32 v22, v42, v22                                // 0000000057A0: 022C2D2A
	v_add_f32_e32 v22, v43, v22                                // 0000000057A4: 022C2D2B
	v_add_f32_e32 v22, v44, v22                                // 0000000057A8: 022C2D2C
	v_add_f32_e32 v22, v45, v22                                // 0000000057AC: 022C2D2D
	v_add_f32_e32 v22, v46, v22                                // 0000000057B0: 022C2D2E
	v_add_f32_e32 v22, v47, v22                                // 0000000057B4: 022C2D2F
	v_add_f32_e32 v14, v22, v14                                // 0000000057B8: 021C1D16
	ds_read_b128 a[112:115], v7 offset:47360                   // 0000000057BC: DBFEB900 70000007
	ds_read_b128 a[116:119], v7 offset:48384                   // 0000000057C4: DBFEBD00 74000007
	v_cvt_pk_fp8_f32 v40, v40, v41                             // 0000000057CC: D2A20028 00025328
	v_cvt_pk_fp8_f32 v40, v42, v43 op_sel:[0,0,1]              // 0000000057D4: D2A24028 0002572A
	v_cvt_pk_fp8_f32 v41, v44, v45                             // 0000000057DC: D2A20029 00025B2C
	v_cvt_pk_fp8_f32 v41, v46, v47 op_sel:[0,0,1]              // 0000000057E4: D2A24029 00025F2E
	s_add_u32 s83, s84, s83                                    // 0000000057EC: 80535354
	ds_read_b128 a[120:123], v7 offset:49408                   // 0000000057F0: DBFEC100 78000007
	ds_read_b128 a[124:127], v7 offset:50432                   // 0000000057F8: DBFEC500 7C000007
	s_nop 0                                                    // 000000005800: BF800000
	v_mul_u32_u24_dpp v18, v10, v9 row_newbcast:0 row_mask:0xf bank_mask:0xf// 000000005804: 102412FA FF01500A
	v_mul_u32_u24_dpp v19, v10, v9 row_newbcast:8 row_mask:0xf bank_mask:0xf// 00000000580C: 102612FA FF01580A
	v_add_u32_e32 v18, v18, v1                                 // 000000005814: 68240312
	v_add_u32_e32 v19, v19, v1                                 // 000000005818: 68260313
	s_mov_b32 m0, s34                                          // 00000000581C: BEFC0022
	ds_read_b128 a[128:131], v7 offset:51456                   // 000000005820: DBFEC900 80000007
	ds_read_b128 a[132:135], v7 offset:52480                   // 000000005828: DBFECD00 84000007
	v_mov_b32_e32 v22, v16                                     // 000000005830: 7E2C0310
	v_mov_b32_e32 v23, v16                                     // 000000005834: 7E2E0310
	v_pk_mul_f32 v[56:57], v[22:23], v[56:57]                  // 000000005838: D3B14038 18027116
	v_pk_mul_f32 v[58:59], v[22:23], v[58:59]                  // 000000005840: D3B1403A 18027516
	v_pk_mul_f32 v[60:61], v[22:23], v[60:61]                  // 000000005848: D3B1403C 18027916
	v_pk_mul_f32 v[62:63], v[22:23], v[62:63]                  // 000000005850: D3B1403E 18027D16
	v_pk_mul_f32 v[64:65], v[22:23], v[64:65]                  // 000000005858: D3B14040 18028116
	v_pk_mul_f32 v[66:67], v[22:23], v[66:67]                  // 000000005860: D3B14042 18028516
	v_pk_mul_f32 v[68:69], v[22:23], v[68:69]                  // 000000005868: D3B14044 18028916
	v_pk_mul_f32 v[70:71], v[22:23], v[70:71]                  // 000000005870: D3B14046 18028D16
	v_pk_mul_f32 v[72:73], v[22:23], v[72:73]                  // 000000005878: D3B14048 18029116
	v_pk_mul_f32 v[74:75], v[22:23], v[74:75]                  // 000000005880: D3B1404A 18029516
	v_pk_mul_f32 v[76:77], v[22:23], v[76:77]                  // 000000005888: D3B1404C 18029916
	v_pk_mul_f32 v[78:79], v[22:23], v[78:79]                  // 000000005890: D3B1404E 18029D16
	v_pk_mul_f32 v[80:81], v[22:23], v[80:81]                  // 000000005898: D3B14050 1802A116
	v_pk_mul_f32 v[82:83], v[22:23], v[82:83]                  // 0000000058A0: D3B14052 1802A516
	v_pk_mul_f32 v[84:85], v[22:23], v[84:85]                  // 0000000058A8: D3B14054 1802A916
	v_pk_mul_f32 v[86:87], v[22:23], v[86:87]                  // 0000000058B0: D3B14056 1802AD16
	v_pk_mul_f32 v[88:89], v[22:23], v[88:89]                  // 0000000058B8: D3B14058 1802B116
	v_pk_mul_f32 v[90:91], v[22:23], v[90:91]                  // 0000000058C0: D3B1405A 1802B516
	v_pk_mul_f32 v[92:93], v[22:23], v[92:93]                  // 0000000058C8: D3B1405C 1802B916
	v_pk_mul_f32 v[94:95], v[22:23], v[94:95]                  // 0000000058D0: D3B1405E 1802BD16
	v_pk_mul_f32 v[96:97], v[22:23], v[96:97]                  // 0000000058D8: D3B14060 1802C116
	v_pk_mul_f32 v[98:99], v[22:23], v[98:99]                  // 0000000058E0: D3B14062 1802C516
	v_pk_mul_f32 v[100:101], v[22:23], v[100:101]              // 0000000058E8: D3B14064 1802C916
	v_pk_mul_f32 v[102:103], v[22:23], v[102:103]              // 0000000058F0: D3B14066 1802CD16
	v_pk_mul_f32 v[104:105], v[22:23], v[104:105]              // 0000000058F8: D3B14068 1802D116
	v_pk_mul_f32 v[106:107], v[22:23], v[106:107]              // 000000005900: D3B1406A 1802D516
	v_pk_mul_f32 v[108:109], v[22:23], v[108:109]              // 000000005908: D3B1406C 1802D916
	v_pk_mul_f32 v[110:111], v[22:23], v[110:111]              // 000000005910: D3B1406E 1802DD16
	v_pk_mul_f32 v[112:113], v[22:23], v[112:113]              // 000000005918: D3B14070 1802E116
	v_pk_mul_f32 v[114:115], v[22:23], v[114:115]              // 000000005920: D3B14072 1802E516
	v_pk_mul_f32 v[116:117], v[22:23], v[116:117]              // 000000005928: D3B14074 1802E916
	v_pk_mul_f32 v[118:119], v[22:23], v[118:119]              // 000000005930: D3B14076 1802ED16
	v_pk_mul_f32 v[120:121], v[22:23], v[120:121]              // 000000005938: D3B14078 1802F116
	v_pk_mul_f32 v[122:123], v[22:23], v[122:123]              // 000000005940: D3B1407A 1802F516
	v_pk_mul_f32 v[124:125], v[22:23], v[124:125]              // 000000005948: D3B1407C 1802F916
	v_pk_mul_f32 v[126:127], v[22:23], v[126:127]              // 000000005950: D3B1407E 1802FD16
	v_pk_mul_f32 v[128:129], v[22:23], v[128:129]              // 000000005958: D3B14080 18030116
	v_pk_mul_f32 v[130:131], v[22:23], v[130:131]              // 000000005960: D3B14082 18030516
	v_pk_mul_f32 v[132:133], v[22:23], v[132:133]              // 000000005968: D3B14084 18030916
	v_pk_mul_f32 v[134:135], v[22:23], v[134:135]              // 000000005970: D3B14086 18030D16
	v_pk_mul_f32 v[136:137], v[22:23], v[136:137]              // 000000005978: D3B14088 18031116
	v_pk_mul_f32 v[138:139], v[22:23], v[138:139]              // 000000005980: D3B1408A 18031516
	v_pk_mul_f32 v[140:141], v[22:23], v[140:141]              // 000000005988: D3B1408C 18031916
	v_pk_mul_f32 v[142:143], v[22:23], v[142:143]              // 000000005990: D3B1408E 18031D16
	v_pk_mul_f32 v[144:145], v[22:23], v[144:145]              // 000000005998: D3B14090 18032116
	v_pk_mul_f32 v[146:147], v[22:23], v[146:147]              // 0000000059A0: D3B14092 18032516
	v_pk_mul_f32 v[148:149], v[22:23], v[148:149]              // 0000000059A8: D3B14094 18032916
	v_pk_mul_f32 v[150:151], v[22:23], v[150:151]              // 0000000059B0: D3B14096 18032D16
	v_pk_mul_f32 v[152:153], v[22:23], v[152:153]              // 0000000059B8: D3B14098 18033116
	v_pk_mul_f32 v[154:155], v[22:23], v[154:155]              // 0000000059C0: D3B1409A 18033516
	v_pk_mul_f32 v[156:157], v[22:23], v[156:157]              // 0000000059C8: D3B1409C 18033916
	v_pk_mul_f32 v[158:159], v[22:23], v[158:159]              // 0000000059D0: D3B1409E 18033D16
	v_pk_mul_f32 v[160:161], v[22:23], v[160:161]              // 0000000059D8: D3B140A0 18034116
	v_pk_mul_f32 v[162:163], v[22:23], v[162:163]              // 0000000059E0: D3B140A2 18034516
	v_pk_mul_f32 v[164:165], v[22:23], v[164:165]              // 0000000059E8: D3B140A4 18034916
	v_pk_mul_f32 v[166:167], v[22:23], v[166:167]              // 0000000059F0: D3B140A6 18034D16
	v_pk_mul_f32 v[168:169], v[22:23], v[168:169]              // 0000000059F8: D3B140A8 18035116
	v_pk_mul_f32 v[170:171], v[22:23], v[170:171]              // 000000005A00: D3B140AA 18035516
	v_pk_mul_f32 v[172:173], v[22:23], v[172:173]              // 000000005A08: D3B140AC 18035916
	v_pk_mul_f32 v[174:175], v[22:23], v[174:175]              // 000000005A10: D3B140AE 18035D16
	v_pk_mul_f32 v[176:177], v[22:23], v[176:177]              // 000000005A18: D3B140B0 18036116
	v_pk_mul_f32 v[178:179], v[22:23], v[178:179]              // 000000005A20: D3B140B2 18036516
	v_pk_mul_f32 v[180:181], v[22:23], v[180:181]              // 000000005A28: D3B140B4 18036916
	v_pk_mul_f32 v[182:183], v[22:23], v[182:183]              // 000000005A30: D3B140B6 18036D16
	s_waitcnt lgkmcnt(0)                                       // 000000005A38: BF8CC07F
	s_waitcnt vmcnt(18)                                        // 000000005A3C: BF8C4F72
	s_barrier                                                  // 000000005A40: BF8A0000
	v_mfma_f32_16x16x32_fp8_fp8 v[56:59], a[72:73], v[40:41], v[56:59]// 000000005A44: D3F30038 0CE25148
	ds_read_b32 v20, v5                                        // 000000005A4C: D86C0000 14000005
	ds_read_b32 v21, v5 offset:4640                            // 000000005A54: D86C1220 15000005
	ds_read_b32 v22, v5 offset:9280                            // 000000005A5C: D86C2440 16000005
	ds_read_b32 v23, v5 offset:13920                           // 000000005A64: D86C3660 17000005
	v_mfma_f32_16x16x32_fp8_fp8 v[60:63], a[74:75], v[40:41], v[60:63]// 000000005A6C: D3F3003C 0CF2514A
	v_mfma_f32_16x16x32_fp8_fp8 v[64:67], a[76:77], v[40:41], v[64:67]// 000000005A74: D3F30040 0D02514C
	ds_read_b32 v24, v5 offset:128                             // 000000005A7C: D86C0080 18000005
	ds_read_b32 v25, v5 offset:4768                            // 000000005A84: D86C12A0 19000005
	ds_read_b32 v26, v5 offset:9408                            // 000000005A8C: D86C24C0 1A000005
	ds_read_b32 v27, v5 offset:14048                           // 000000005A94: D86C36E0 1B000005
	v_mfma_f32_16x16x32_fp8_fp8 v[68:71], a[78:79], v[40:41], v[68:71]// 000000005A9C: D3F30044 0D12514E
	v_mfma_f32_16x16x32_fp8_fp8 v[72:75], a[80:81], v[40:41], v[72:75]// 000000005AA4: D3F30048 0D225150
	v_mfma_f32_16x16x32_fp8_fp8 v[76:79], a[82:83], v[40:41], v[76:79]// 000000005AAC: D3F3004C 0D325152
	v_mfma_f32_16x16x32_fp8_fp8 v[80:83], a[84:85], v[40:41], v[80:83]// 000000005AB4: D3F30050 0D425154
	v_mfma_f32_16x16x32_fp8_fp8 v[84:87], a[86:87], v[40:41], v[84:87]// 000000005ABC: D3F30054 0D525156
	v_mfma_f32_16x16x32_fp8_fp8 v[88:91], a[88:89], v[40:41], v[88:91]// 000000005AC4: D3F30058 0D625158
	s_waitcnt lgkmcnt(0)                                       // 000000005ACC: BF8CC07F
	v_perm_b32 v32, v22, v20, s52                              // 000000005AD0: D1ED0020 00D22916
	v_perm_b32 v33, v22, v20, s53                              // 000000005AD8: D1ED0021 00D62916
	v_perm_b32 v34, v23, v21, s52                              // 000000005AE0: D1ED0022 00D22B17
	v_perm_b32 v35, v23, v21, s53                              // 000000005AE8: D1ED0023 00D62B17
	v_perm_b32 v28, v34, v32, s54                              // 000000005AF0: D1ED001C 00DA4122
	v_perm_b32 v36, v34, v32, s55                              // 000000005AF8: D1ED0024 00DE4122
	v_perm_b32 v30, v35, v33, s54                              // 000000005B00: D1ED001E 00DA4323
	v_perm_b32 v38, v35, v33, s55                              // 000000005B08: D1ED0026 00DE4323
	v_perm_b32 v32, v26, v24, s52                              // 000000005B10: D1ED0020 00D2311A
	v_perm_b32 v33, v26, v24, s53                              // 000000005B18: D1ED0021 00D6311A
	v_perm_b32 v34, v27, v25, s52                              // 000000005B20: D1ED0022 00D2331B
	v_perm_b32 v35, v27, v25, s53                              // 000000005B28: D1ED0023 00D6331B
	v_perm_b32 v29, v34, v32, s54                              // 000000005B30: D1ED001D 00DA4122
	v_perm_b32 v37, v34, v32, s55                              // 000000005B38: D1ED0025 00DE4122
	v_perm_b32 v31, v35, v33, s54                              // 000000005B40: D1ED001F 00DA4323
	v_perm_b32 v39, v35, v33, s55                              // 000000005B48: D1ED0027 00DE4323
	v_mfma_f32_16x16x32_fp8_fp8 v[92:95], a[90:91], v[40:41], v[92:95]// 000000005B50: D3F3005C 0D72515A
	v_mfma_f32_16x16x32_fp8_fp8 v[96:99], a[92:93], v[40:41], v[96:99]// 000000005B58: D3F30060 0D82515C
	ds_write_b128 v6, v[28:31] offset:37120                    // 000000005B60: D9BE9100 00001C06
	v_mfma_f32_16x16x32_fp8_fp8 v[100:103], a[94:95], v[40:41], v[100:103]// 000000005B68: D3F30064 0D92515E
	v_mfma_f32_16x16x32_fp8_fp8 v[104:107], a[96:97], v[40:41], v[104:107]// 000000005B70: D3F30068 0DA25160
	v_mfma_f32_16x16x32_fp8_fp8 v[108:111], a[98:99], v[40:41], v[108:111]// 000000005B78: D3F3006C 0DB25162
	v_mfma_f32_16x16x32_fp8_fp8 v[112:115], a[100:101], v[40:41], v[112:115]// 000000005B80: D3F30070 0DC25164
	ds_write_b128 v6, v[36:39] offset:38144                    // 000000005B88: D9BE9500 00002406
	v_mfma_f32_16x16x32_fp8_fp8 v[116:119], a[102:103], v[40:41], v[116:119]// 000000005B90: D3F30074 0DD25166
	v_mfma_f32_16x16x32_fp8_fp8 v[120:123], a[104:105], v[40:41], v[120:123]// 000000005B98: D3F30078 0DE25168
	v_mfma_f32_16x16x32_fp8_fp8 v[124:127], a[106:107], v[40:41], v[124:127]// 000000005BA0: D3F3007C 0DF2516A
	v_mfma_f32_16x16x32_fp8_fp8 v[128:131], a[108:109], v[40:41], v[128:131]// 000000005BA8: D3F30080 0E02516C
	ds_read_b32 v20, v5 offset:1024                            // 000000005BB0: D86C0400 14000005
	ds_read_b32 v21, v5 offset:5664                            // 000000005BB8: D86C1620 15000005
	ds_read_b32 v22, v5 offset:10304                           // 000000005BC0: D86C2840 16000005
	ds_read_b32 v23, v5 offset:14944                           // 000000005BC8: D86C3A60 17000005
	v_mfma_f32_16x16x32_fp8_fp8 v[132:135], a[110:111], v[40:41], v[132:135]// 000000005BD0: D3F30084 0E12516E
	v_mfma_f32_16x16x32_fp8_fp8 v[136:139], a[112:113], v[40:41], v[136:139]// 000000005BD8: D3F30088 0E225170
	ds_read_b32 v24, v5 offset:1152                            // 000000005BE0: D86C0480 18000005
	ds_read_b32 v25, v5 offset:5792                            // 000000005BE8: D86C16A0 19000005
	ds_read_b32 v26, v5 offset:10432                           // 000000005BF0: D86C28C0 1A000005
	ds_read_b32 v27, v5 offset:15072                           // 000000005BF8: D86C3AE0 1B000005
	v_mfma_f32_16x16x32_fp8_fp8 v[140:143], a[114:115], v[40:41], v[140:143]// 000000005C00: D3F3008C 0E325172
	v_mfma_f32_16x16x32_fp8_fp8 v[144:147], a[116:117], v[40:41], v[144:147]// 000000005C08: D3F30090 0E425174
	ds_read_b128 a[72:75], v4                                  // 000000005C10: DBFE0000 48000004
	ds_read_b128 a[76:79], v4 offset:256                       // 000000005C18: DBFE0100 4C000004
	v_mfma_f32_16x16x32_fp8_fp8 v[148:151], a[118:119], v[40:41], v[148:151]// 000000005C20: D3F30094 0E525176
	v_mfma_f32_16x16x32_fp8_fp8 v[152:155], a[120:121], v[40:41], v[152:155]// 000000005C28: D3F30098 0E625178
	ds_read_b128 a[80:83], v4 offset:512                       // 000000005C30: DBFE0200 50000004
	ds_read_b128 a[84:87], v4 offset:768                       // 000000005C38: DBFE0300 54000004
	v_mfma_f32_16x16x32_fp8_fp8 v[156:159], a[122:123], v[40:41], v[156:159]// 000000005C40: D3F3009C 0E72517A
	v_mfma_f32_16x16x32_fp8_fp8 v[160:163], a[124:125], v[40:41], v[160:163]// 000000005C48: D3F300A0 0E82517C
	ds_read_b128 a[88:91], v4 offset:1024                      // 000000005C50: DBFE0400 58000004
	ds_read_b128 a[92:95], v4 offset:1280                      // 000000005C58: DBFE0500 5C000004
	v_mfma_f32_16x16x32_fp8_fp8 v[164:167], a[126:127], v[40:41], v[164:167]// 000000005C60: D3F300A4 0E92517E
	v_mfma_f32_16x16x32_fp8_fp8 v[168:171], a[128:129], v[40:41], v[168:171]// 000000005C68: D3F300A8 0EA25180
	ds_read_b128 a[96:99], v4 offset:1536                      // 000000005C70: DBFE0600 60000004
	ds_read_b128 a[100:103], v4 offset:1792                    // 000000005C78: DBFE0700 64000004
	v_mfma_f32_16x16x32_fp8_fp8 v[172:175], a[130:131], v[40:41], v[172:175]// 000000005C80: D3F300AC 0EB25182
	v_mfma_f32_16x16x32_fp8_fp8 v[176:179], a[132:133], v[40:41], v[176:179]// 000000005C88: D3F300B0 0EC25184
	v_mfma_f32_16x16x32_fp8_fp8 v[180:183], a[134:135], v[40:41], v[180:183]// 000000005C90: D3F300B4 0ED25186
	s_nop 0                                                    // 000000005C98: BF800000
	s_addk_i32 s70, 0x1                                        // 000000005C9C: B7460001
	s_cmp_lt_i32 s70, s71                                      // 000000005CA0: BF044746
	s_cbranch_scc0 label_0923                                  // 000000005CA4: BF84FAB9
	s_branch label_0926                                        // 000000005CA8: BF82FABB

0000000000005cac <label_0E6B>:
	s_cmp_eq_i32 s48, 0                                        // 000000005CAC: BF008030
	s_cbranch_scc1 label_1300                                  // 000000005CB0: BF850493

0000000000005cb4 <label_0E6D>:
	s_and_b32 s56, s71, 1                                      // 000000005CB4: 86388147
	s_cmp_eq_i32 s56, 1                                        // 000000005CB8: BF008138
	s_cbranch_scc1 label_10B8                                  // 000000005CBC: BF850248
	s_waitcnt lgkmcnt(6)                                       // 000000005CC0: BF8CC67F
	v_mfma_f32_16x16x32_fp8_fp8 v[40:43], a[72:73], a[0:1], 0  // 000000005CC4: D3F30028 1A020148
	ds_read_b128 a[104:107], v4 offset:2048                    // 000000005CCC: DBFE0800 68000004
	ds_read_b128 a[108:111], v4 offset:128                     // 000000005CD4: DBFE0080 6C000004
	v_mfma_f32_16x16x32_fp8_fp8 v[40:43], a[74:75], a[2:3], v[40:43]// 000000005CDC: D3F30028 1CA2054A
	v_mfma_f32_16x16x32_fp8_fp8 v[40:43], a[76:77], a[4:5], v[40:43]// 000000005CE4: D3F30028 1CA2094C
	v_mfma_f32_16x16x32_fp8_fp8 v[40:43], a[78:79], a[6:7], v[40:43]// 000000005CEC: D3F30028 1CA20D4E
	v_mfma_f32_16x16x32_fp8_fp8 v[40:43], a[80:81], a[8:9], v[40:43]// 000000005CF4: D3F30028 1CA21150
	ds_read_b128 a[112:115], v4 offset:384                     // 000000005CFC: DBFE0180 70000004
	ds_read_b128 a[116:119], v4 offset:640                     // 000000005D04: DBFE0280 74000004
	v_mfma_f32_16x16x32_fp8_fp8 v[40:43], a[82:83], a[10:11], v[40:43]// 000000005D0C: D3F30028 1CA21552
	v_mfma_f32_16x16x32_fp8_fp8 v[40:43], a[84:85], a[12:13], v[40:43]// 000000005D14: D3F30028 1CA21954
	v_mfma_f32_16x16x32_fp8_fp8 v[40:43], a[86:87], a[14:15], v[40:43]// 000000005D1C: D3F30028 1CA21D56
	s_waitcnt lgkmcnt(6)                                       // 000000005D24: BF8CC67F
	v_mfma_f32_16x16x32_fp8_fp8 v[40:43], a[88:89], a[16:17], v[40:43]// 000000005D28: D3F30028 1CA22158
	ds_read_b128 a[120:123], v4 offset:896                     // 000000005D30: DBFE0380 78000004
	ds_read_b128 a[124:127], v4 offset:1152                    // 000000005D38: DBFE0480 7C000004
	v_mfma_f32_16x16x32_fp8_fp8 v[40:43], a[90:91], a[18:19], v[40:43]// 000000005D40: D3F30028 1CA2255A
	v_mfma_f32_16x16x32_fp8_fp8 v[40:43], a[92:93], a[20:21], v[40:43]// 000000005D48: D3F30028 1CA2295C
	v_mfma_f32_16x16x32_fp8_fp8 v[40:43], a[94:95], a[22:23], v[40:43]// 000000005D50: D3F30028 1CA22D5E
	v_mfma_f32_16x16x32_fp8_fp8 v[40:43], a[96:97], a[24:25], v[40:43]// 000000005D58: D3F30028 1CA23160
	ds_read_b128 a[128:131], v4 offset:1408                    // 000000005D60: DBFE0580 80000004
	ds_read_b128 a[132:135], v4 offset:1664                    // 000000005D68: DBFE0680 84000004
	v_mfma_f32_16x16x32_fp8_fp8 v[40:43], a[98:99], a[26:27], v[40:43]// 000000005D70: D3F30028 1CA23562
	v_mfma_f32_16x16x32_fp8_fp8 v[40:43], a[100:101], a[28:29], v[40:43]// 000000005D78: D3F30028 1CA23964
	v_mfma_f32_16x16x32_fp8_fp8 v[40:43], a[102:103], a[30:31], v[40:43]// 000000005D80: D3F30028 1CA23D66
	s_waitcnt lgkmcnt(6)                                       // 000000005D88: BF8CC67F
	s_barrier                                                  // 000000005D8C: BF8A0000
	v_mfma_f32_16x16x32_fp8_fp8 v[40:43], a[104:105], a[32:33], v[40:43]// 000000005D90: D3F30028 1CA24168
	ds_read_b128 a[136:139], v4 offset:1920                    // 000000005D98: DBFE0780 88000004
	ds_read_b128 a[140:143], v4 offset:2176                    // 000000005DA0: DBFE0880 8C000004
	v_mfma_f32_16x16x32_fp8_fp8 v[40:43], a[106:107], a[34:35], v[40:43]// 000000005DA8: D3F30028 1CA2456A
	v_mfma_f32_16x16x32_fp8_fp8 v[44:47], a[108:109], a[0:1], 0// 000000005DB0: D3F3002C 1A02016C
	v_perm_b32 v32, v22, v20, s52                              // 000000005DB8: D1ED0020 00D22916
	v_perm_b32 v33, v22, v20, s53                              // 000000005DC0: D1ED0021 00D62916
	v_perm_b32 v34, v23, v21, s52                              // 000000005DC8: D1ED0022 00D22B17
	v_perm_b32 v35, v23, v21, s53                              // 000000005DD0: D1ED0023 00D62B17
	v_perm_b32 v28, v34, v32, s54                              // 000000005DD8: D1ED001C 00DA4122
	v_perm_b32 v36, v34, v32, s55                              // 000000005DE0: D1ED0024 00DE4122
	v_perm_b32 v30, v35, v33, s54                              // 000000005DE8: D1ED001E 00DA4323
	v_perm_b32 v38, v35, v33, s55                              // 000000005DF0: D1ED0026 00DE4323
	v_mfma_f32_16x16x32_fp8_fp8 v[44:47], a[110:111], a[2:3], v[44:47]// 000000005DF8: D3F3002C 1CB2056E
	v_mfma_f32_16x16x32_fp8_fp8 v[44:47], a[112:113], a[4:5], v[44:47]// 000000005E00: D3F3002C 1CB20970
	v_perm_b32 v32, v26, v24, s52                              // 000000005E08: D1ED0020 00D2311A
	v_perm_b32 v33, v26, v24, s53                              // 000000005E10: D1ED0021 00D6311A
	v_perm_b32 v34, v27, v25, s52                              // 000000005E18: D1ED0022 00D2331B
	v_perm_b32 v35, v27, v25, s53                              // 000000005E20: D1ED0023 00D6331B
	v_perm_b32 v29, v34, v32, s54                              // 000000005E28: D1ED001D 00DA4122
	v_perm_b32 v37, v34, v32, s55                              // 000000005E30: D1ED0025 00DE4122
	v_perm_b32 v31, v35, v33, s54                              // 000000005E38: D1ED001F 00DA4323
	v_perm_b32 v39, v35, v33, s55                              // 000000005E40: D1ED0027 00DE4323
	v_mfma_f32_16x16x32_fp8_fp8 v[44:47], a[114:115], a[6:7], v[44:47]// 000000005E48: D3F3002C 1CB20D72
	v_mfma_f32_16x16x32_fp8_fp8 v[44:47], a[116:117], a[8:9], v[44:47]// 000000005E50: D3F3002C 1CB21174
	ds_write_b128 v6, v[28:31] offset:45312                    // 000000005E58: D9BEB100 00001C06
	v_mfma_f32_16x16x32_fp8_fp8 v[44:47], a[118:119], a[10:11], v[44:47]// 000000005E60: D3F3002C 1CB21576
	s_waitcnt lgkmcnt(1)                                       // 000000005E68: BF8CC17F
	v_mfma_f32_16x16x32_fp8_fp8 v[44:47], a[120:121], a[12:13], v[44:47]// 000000005E6C: D3F3002C 1CB21978
	v_mfma_f32_16x16x32_fp8_fp8 v[44:47], a[122:123], a[14:15], v[44:47]// 000000005E74: D3F3002C 1CB21D7A
	v_mfma_f32_16x16x32_fp8_fp8 v[44:47], a[124:125], a[16:17], v[44:47]// 000000005E7C: D3F3002C 1CB2217C
	v_mfma_f32_16x16x32_fp8_fp8 v[44:47], a[126:127], a[18:19], v[44:47]// 000000005E84: D3F3002C 1CB2257E
	v_mfma_f32_16x16x32_fp8_fp8 v[44:47], a[128:129], a[20:21], v[44:47]// 000000005E8C: D3F3002C 1CB22980
	v_mfma_f32_16x16x32_fp8_fp8 v[44:47], a[130:131], a[22:23], v[44:47]// 000000005E94: D3F3002C 1CB22D82
	v_mfma_f32_16x16x32_fp8_fp8 v[44:47], a[132:133], a[24:25], v[44:47]// 000000005E9C: D3F3002C 1CB23184
	ds_write_b128 v6, v[36:39] offset:46336                    // 000000005EA4: D9BEB500 00002406
	v_mfma_f32_16x16x32_fp8_fp8 v[44:47], a[134:135], a[26:27], v[44:47]// 000000005EAC: D3F3002C 1CB23586
	v_mfma_f32_16x16x32_fp8_fp8 v[44:47], a[136:137], a[28:29], v[44:47]// 000000005EB4: D3F3002C 1CB23988
	v_mfma_f32_16x16x32_fp8_fp8 v[44:47], a[138:139], a[30:31], v[44:47]// 000000005EBC: D3F3002C 1CB23D8A
	v_mfma_f32_16x16x32_fp8_fp8 v[44:47], a[140:141], a[32:33], v[44:47]// 000000005EC4: D3F3002C 1CB2418C
	v_mfma_f32_16x16x32_fp8_fp8 v[44:47], a[142:143], a[34:35], v[44:47]// 000000005ECC: D3F3002C 1CB2458E
	s_cmp_le_i32 s83, s82                                      // 000000005ED4: BF055253
	s_cbranch_scc1 label_0F33                                  // 000000005ED8: BF85003C
	v_mov_b32_e32 v25, 0xff800000                              // 000000005EDC: 7E3202FF FF800000
	s_add_u32 s57, s82, 0                                      // 000000005EE4: 80398052
	v_mov_b32_e32 v24, s57                                     // 000000005EE8: 7E300239
	v_add_u32_e32 v24, s7, v24                                 // 000000005EEC: 68303007
	s_sub_u32 s56, s83, 31                                     // 000000005EF0: 80B89F53
	v_lshrrev_b32_e32 v20, 4, v0                               // 000000005EF4: 20280084
	v_mul_i32_i24_e32 v20, 4, v20                              // 000000005EF8: 0C282884
	v_add_u32_e32 v20, s56, v20                                // 000000005EFC: 68282838
	v_add_u32_e32 v21, 1, v20                                  // 000000005F00: 682A2881
	v_add_u32_e32 v22, 2, v20                                  // 000000005F04: 682C2882
	v_add_u32_e32 v23, 3, v20                                  // 000000005F08: 682E2883
	v_cmp_le_u32_e64 s[38:39], v20, v24                        // 000000005F0C: D0CB0026 00023114
	v_add_u32_e32 v20, 16, v20                                 // 000000005F14: 68282890
	s_nop 0                                                    // 000000005F18: BF800000
	v_cndmask_b32_e64 v40, v25, v40, s[38:39]                  // 000000005F1C: D1000028 009A5119
	v_cmp_le_u32_e64 s[38:39], v21, v24                        // 000000005F24: D0CB0026 00023115
	v_add_u32_e32 v21, 16, v21                                 // 000000005F2C: 682A2A90
	s_nop 0                                                    // 000000005F30: BF800000
	v_cndmask_b32_e64 v41, v25, v41, s[38:39]                  // 000000005F34: D1000029 009A5319
	v_cmp_le_u32_e64 s[38:39], v22, v24                        // 000000005F3C: D0CB0026 00023116
	v_add_u32_e32 v22, 16, v22                                 // 000000005F44: 682C2C90
	s_nop 0                                                    // 000000005F48: BF800000
	v_cndmask_b32_e64 v42, v25, v42, s[38:39]                  // 000000005F4C: D100002A 009A5519
	v_cmp_le_u32_e64 s[38:39], v23, v24                        // 000000005F54: D0CB0026 00023117
	v_add_u32_e32 v23, 16, v23                                 // 000000005F5C: 682E2E90
	s_nop 0                                                    // 000000005F60: BF800000
	v_cndmask_b32_e64 v43, v25, v43, s[38:39]                  // 000000005F64: D100002B 009A5719
	v_cmp_le_u32_e64 s[38:39], v20, v24                        // 000000005F6C: D0CB0026 00023114
	v_add_u32_e32 v20, 16, v20                                 // 000000005F74: 68282890
	s_nop 0                                                    // 000000005F78: BF800000
	v_cndmask_b32_e64 v44, v25, v44, s[38:39]                  // 000000005F7C: D100002C 009A5919
	v_cmp_le_u32_e64 s[38:39], v21, v24                        // 000000005F84: D0CB0026 00023115
	v_add_u32_e32 v21, 16, v21                                 // 000000005F8C: 682A2A90
	s_nop 0                                                    // 000000005F90: BF800000
	v_cndmask_b32_e64 v45, v25, v45, s[38:39]                  // 000000005F94: D100002D 009A5B19
	v_cmp_le_u32_e64 s[38:39], v22, v24                        // 000000005F9C: D0CB0026 00023116
	v_add_u32_e32 v22, 16, v22                                 // 000000005FA4: 682C2C90
	s_nop 0                                                    // 000000005FA8: BF800000
	v_cndmask_b32_e64 v46, v25, v46, s[38:39]                  // 000000005FAC: D100002E 009A5D19
	v_cmp_le_u32_e64 s[38:39], v23, v24                        // 000000005FB4: D0CB0026 00023117
	v_add_u32_e32 v23, 16, v23                                 // 000000005FBC: 682E2E90
	s_nop 0                                                    // 000000005FC0: BF800000
	v_cndmask_b32_e64 v47, v25, v47, s[38:39]                  // 000000005FC4: D100002F 009A5F19

0000000000005fcc <label_0F33>:
	buffer_load_dword v19, s[20:23], 0 offen offset:256 lds    // 000000005FCC: E0511100 80050013
	s_add_u32 m0, 0x3c0, s34                                   // 000000005FD4: 807C22FF 000003C0
	v_mov_b32_e32 v25, 0xff800000                              // 000000005FDC: 7E3202FF FF800000
	s_and_b32 s56, s48, 0xff                                   // 000000005FE4: 8638FF30 000000FF
	v_mov_b32_e32 v24, s56                                     // 000000005FEC: 7E300238
	v_lshrrev_b32_e32 v20, 4, v0                               // 000000005FF0: 20280084
	v_mul_i32_i24_e32 v20, 4, v20                              // 000000005FF4: 0C282884
	v_add_u32_e32 v21, 1, v20                                  // 000000005FF8: 682A2881
	v_add_u32_e32 v22, 2, v20                                  // 000000005FFC: 682C2882
	v_add_u32_e32 v23, 3, v20                                  // 000000006000: 682E2883
	v_cmp_lt_u32_e64 s[38:39], v20, v24                        // 000000006004: D0C90026 00023114
	v_add_u32_e32 v20, 16, v20                                 // 00000000600C: 68282890
	s_nop 0                                                    // 000000006010: BF800000
	v_cndmask_b32_e64 v40, v25, v40, s[38:39]                  // 000000006014: D1000028 009A5119
	v_cmp_lt_u32_e64 s[38:39], v21, v24                        // 00000000601C: D0C90026 00023115
	v_add_u32_e32 v21, 16, v21                                 // 000000006024: 682A2A90
	s_nop 0                                                    // 000000006028: BF800000
	v_cndmask_b32_e64 v41, v25, v41, s[38:39]                  // 00000000602C: D1000029 009A5319
	v_cmp_lt_u32_e64 s[38:39], v22, v24                        // 000000006034: D0C90026 00023116
	v_add_u32_e32 v22, 16, v22                                 // 00000000603C: 682C2C90
	s_nop 0                                                    // 000000006040: BF800000
	v_cndmask_b32_e64 v42, v25, v42, s[38:39]                  // 000000006044: D100002A 009A5519
	v_cmp_lt_u32_e64 s[38:39], v23, v24                        // 00000000604C: D0C90026 00023117
	v_add_u32_e32 v23, 16, v23                                 // 000000006054: 682E2E90
	s_nop 0                                                    // 000000006058: BF800000
	v_cndmask_b32_e64 v43, v25, v43, s[38:39]                  // 00000000605C: D100002B 009A5719
	v_cmp_lt_u32_e64 s[38:39], v20, v24                        // 000000006064: D0C90026 00023114
	v_add_u32_e32 v20, 16, v20                                 // 00000000606C: 68282890
	s_nop 0                                                    // 000000006070: BF800000
	v_cndmask_b32_e64 v44, v25, v44, s[38:39]                  // 000000006074: D100002C 009A5919
	v_cmp_lt_u32_e64 s[38:39], v21, v24                        // 00000000607C: D0C90026 00023115
	v_add_u32_e32 v21, 16, v21                                 // 000000006084: 682A2A90
	s_nop 0                                                    // 000000006088: BF800000
	v_cndmask_b32_e64 v45, v25, v45, s[38:39]                  // 00000000608C: D100002D 009A5B19
	v_cmp_lt_u32_e64 s[38:39], v22, v24                        // 000000006094: D0C90026 00023116
	v_add_u32_e32 v22, 16, v22                                 // 00000000609C: 682C2C90
	s_nop 0                                                    // 0000000060A0: BF800000
	v_cndmask_b32_e64 v46, v25, v46, s[38:39]                  // 0000000060A4: D100002E 009A5D19
	v_cmp_lt_u32_e64 s[38:39], v23, v24                        // 0000000060AC: D0C90026 00023117
	v_add_u32_e32 v23, 16, v23                                 // 0000000060B4: 682E2E90
	s_nop 0                                                    // 0000000060B8: BF800000
	v_cndmask_b32_e64 v47, v25, v47, s[38:39]                  // 0000000060BC: D100002F 009A5F19
	v_max3_f32 v24, v40, v41, v40                              // 0000000060C4: D1D30018 04A25328
	v_max3_f32 v24, v42, v43, v24                              // 0000000060CC: D1D30018 0462572A
	v_max3_f32 v24, v44, v45, v24                              // 0000000060D4: D1D30018 04625B2C
	v_max3_f32 v24, v46, v47, v24                              // 0000000060DC: D1D30018 04625F2E
	ds_write_b32 v3, v24 offset:53504                          // 0000000060E4: D81AD100 00001803
	s_waitcnt lgkmcnt(0)                                       // 0000000060EC: BF8CC07F
	ds_read_b32 v20, v2 offset:53504                           // 0000000060F0: D86CD100 14000002
	ds_read_b32 v21, v2 offset:53568                           // 0000000060F8: D86CD140 15000002
	ds_read_b32 v22, v2 offset:53632                           // 000000006100: D86CD180 16000002
	ds_read_b32 v23, v2 offset:53696                           // 000000006108: D86CD1C0 17000002
	s_waitcnt lgkmcnt(0)                                       // 000000006110: BF8CC07F
	ds_read_b128 a[72:75], v7 offset:37120                     // 000000006114: DBFE9100 48000007
	ds_read_b128 a[76:79], v7 offset:38144                     // 00000000611C: DBFE9500 4C000007
	v_max3_f32 v24, v20, v21, v24                              // 000000006124: D1D30018 04622B14
	v_max3_f32 v24, v22, v23, v24                              // 00000000612C: D1D30018 04622F16
	ds_read_b128 a[80:83], v7 offset:39168                     // 000000006134: DBFE9900 50000007
	ds_read_b128 a[84:87], v7 offset:40192                     // 00000000613C: DBFE9D00 54000007
	v_mov_b32_e32 v25, 0xff7fffff                              // 000000006144: 7E3202FF FF7FFFFF
	v_cmp_eq_u32_e64 s[38:39], v25, v12                        // 00000000614C: D0CA0026 00021919
	v_max_f32_e32 v20, v24, v12                                // 000000006154: 16281918
	v_sub_f32_e32 v16, v12, v20                                // 000000006158: 0420290C
	v_cndmask_b32_e64 v16, v16, 0, s[38:39]                    // 00000000615C: D1000010 00990110
	v_mov_b32_e32 v12, v20                                     // 000000006164: 7E180314
	ds_read_b128 a[88:91], v7 offset:41216                     // 000000006168: DBFEA100 58000007
	ds_read_b128 a[92:95], v7 offset:42240                     // 000000006170: DBFEA500 5C000007
	v_mul_f32_e32 v21, s5, v20                                 // 000000006178: 0A2A2805
	v_mul_f32_e32 v16, s5, v16                                 // 00000000617C: 0A202005
	v_exp_f32_e32 v16, v16                                     // 000000006180: 7E204110
	v_fma_f32 v40, v40, s5, -v21                               // 000000006184: D1CB0028 84540B28
	v_fma_f32 v41, v41, s5, -v21                               // 00000000618C: D1CB0029 84540B29
	v_fma_f32 v42, v42, s5, -v21                               // 000000006194: D1CB002A 84540B2A
	v_fma_f32 v43, v43, s5, -v21                               // 00000000619C: D1CB002B 84540B2B
	v_fma_f32 v44, v44, s5, -v21                               // 0000000061A4: D1CB002C 84540B2C
	v_fma_f32 v45, v45, s5, -v21                               // 0000000061AC: D1CB002D 84540B2D
	v_fma_f32 v46, v46, s5, -v21                               // 0000000061B4: D1CB002E 84540B2E
	v_fma_f32 v47, v47, s5, -v21                               // 0000000061BC: D1CB002F 84540B2F
	ds_read_b128 a[96:99], v7 offset:43264                     // 0000000061C4: DBFEA900 60000007
	ds_read_b128 a[100:103], v7 offset:44288                   // 0000000061CC: DBFEAD00 64000007
	v_exp_f32_e32 v40, v40                                     // 0000000061D4: 7E504128
	v_exp_f32_e32 v41, v41                                     // 0000000061D8: 7E524129
	v_exp_f32_e32 v42, v42                                     // 0000000061DC: 7E54412A
	v_exp_f32_e32 v43, v43                                     // 0000000061E0: 7E56412B
	v_exp_f32_e32 v44, v44                                     // 0000000061E4: 7E58412C
	v_exp_f32_e32 v45, v45                                     // 0000000061E8: 7E5A412D
	v_exp_f32_e32 v46, v46                                     // 0000000061EC: 7E5C412E
	v_exp_f32_e32 v47, v47                                     // 0000000061F0: 7E5E412F
	v_mul_f32_e32 v14, v16, v14                                // 0000000061F4: 0A1C1D10
	v_mov_b32_e32 v22, v40                                     // 0000000061F8: 7E2C0328
	ds_read_b128 a[104:107], v7 offset:45312                   // 0000000061FC: DBFEB100 68000007
	ds_read_b128 a[108:111], v7 offset:46336                   // 000000006204: DBFEB500 6C000007
	v_add_f32_e32 v22, v41, v22                                // 00000000620C: 022C2D29
	v_add_f32_e32 v22, v42, v22                                // 000000006210: 022C2D2A
	v_add_f32_e32 v22, v43, v22                                // 000000006214: 022C2D2B
	v_add_f32_e32 v22, v44, v22                                // 000000006218: 022C2D2C
	v_add_f32_e32 v22, v45, v22                                // 00000000621C: 022C2D2D
	v_add_f32_e32 v22, v46, v22                                // 000000006220: 022C2D2E
	v_add_f32_e32 v22, v47, v22                                // 000000006224: 022C2D2F
	v_add_f32_e32 v14, v22, v14                                // 000000006228: 021C1D16
	ds_read_b128 a[112:115], v7 offset:47360                   // 00000000622C: DBFEB900 70000007
	ds_read_b128 a[116:119], v7 offset:48384                   // 000000006234: DBFEBD00 74000007
	v_cvt_pk_fp8_f32 v40, v40, v41                             // 00000000623C: D2A20028 00025328
	v_cvt_pk_fp8_f32 v40, v42, v43 op_sel:[0,0,1]              // 000000006244: D2A24028 0002572A
	v_cvt_pk_fp8_f32 v41, v44, v45                             // 00000000624C: D2A20029 00025B2C
	v_cvt_pk_fp8_f32 v41, v46, v47 op_sel:[0,0,1]              // 000000006254: D2A24029 00025F2E
	s_add_u32 s83, s84, s83                                    // 00000000625C: 80535354
	ds_read_b128 a[120:123], v7 offset:49408                   // 000000006260: DBFEC100 78000007
	ds_read_b128 a[124:127], v7 offset:50432                   // 000000006268: DBFEC500 7C000007
	s_nop 0                                                    // 000000006270: BF800000
	ds_read_b128 a[128:131], v7 offset:51456                   // 000000006274: DBFEC900 80000007
	ds_read_b128 a[132:135], v7 offset:52480                   // 00000000627C: DBFECD00 84000007
	v_mov_b32_e32 v22, v16                                     // 000000006284: 7E2C0310
	v_mov_b32_e32 v23, v16                                     // 000000006288: 7E2E0310
	v_pk_mul_f32 v[56:57], v[22:23], v[56:57]                  // 00000000628C: D3B14038 18027116
	v_pk_mul_f32 v[58:59], v[22:23], v[58:59]                  // 000000006294: D3B1403A 18027516
	v_pk_mul_f32 v[60:61], v[22:23], v[60:61]                  // 00000000629C: D3B1403C 18027916
	v_pk_mul_f32 v[62:63], v[22:23], v[62:63]                  // 0000000062A4: D3B1403E 18027D16
	v_pk_mul_f32 v[64:65], v[22:23], v[64:65]                  // 0000000062AC: D3B14040 18028116
	v_pk_mul_f32 v[66:67], v[22:23], v[66:67]                  // 0000000062B4: D3B14042 18028516
	v_pk_mul_f32 v[68:69], v[22:23], v[68:69]                  // 0000000062BC: D3B14044 18028916
	v_pk_mul_f32 v[70:71], v[22:23], v[70:71]                  // 0000000062C4: D3B14046 18028D16
	v_pk_mul_f32 v[72:73], v[22:23], v[72:73]                  // 0000000062CC: D3B14048 18029116
	v_pk_mul_f32 v[74:75], v[22:23], v[74:75]                  // 0000000062D4: D3B1404A 18029516
	v_pk_mul_f32 v[76:77], v[22:23], v[76:77]                  // 0000000062DC: D3B1404C 18029916
	v_pk_mul_f32 v[78:79], v[22:23], v[78:79]                  // 0000000062E4: D3B1404E 18029D16
	v_pk_mul_f32 v[80:81], v[22:23], v[80:81]                  // 0000000062EC: D3B14050 1802A116
	v_pk_mul_f32 v[82:83], v[22:23], v[82:83]                  // 0000000062F4: D3B14052 1802A516
	v_pk_mul_f32 v[84:85], v[22:23], v[84:85]                  // 0000000062FC: D3B14054 1802A916
	v_pk_mul_f32 v[86:87], v[22:23], v[86:87]                  // 000000006304: D3B14056 1802AD16
	v_pk_mul_f32 v[88:89], v[22:23], v[88:89]                  // 00000000630C: D3B14058 1802B116
	v_pk_mul_f32 v[90:91], v[22:23], v[90:91]                  // 000000006314: D3B1405A 1802B516
	v_pk_mul_f32 v[92:93], v[22:23], v[92:93]                  // 00000000631C: D3B1405C 1802B916
	v_pk_mul_f32 v[94:95], v[22:23], v[94:95]                  // 000000006324: D3B1405E 1802BD16
	v_pk_mul_f32 v[96:97], v[22:23], v[96:97]                  // 00000000632C: D3B14060 1802C116
	v_pk_mul_f32 v[98:99], v[22:23], v[98:99]                  // 000000006334: D3B14062 1802C516
	v_pk_mul_f32 v[100:101], v[22:23], v[100:101]              // 00000000633C: D3B14064 1802C916
	v_pk_mul_f32 v[102:103], v[22:23], v[102:103]              // 000000006344: D3B14066 1802CD16
	v_pk_mul_f32 v[104:105], v[22:23], v[104:105]              // 00000000634C: D3B14068 1802D116
	v_pk_mul_f32 v[106:107], v[22:23], v[106:107]              // 000000006354: D3B1406A 1802D516
	v_pk_mul_f32 v[108:109], v[22:23], v[108:109]              // 00000000635C: D3B1406C 1802D916
	v_pk_mul_f32 v[110:111], v[22:23], v[110:111]              // 000000006364: D3B1406E 1802DD16
	v_pk_mul_f32 v[112:113], v[22:23], v[112:113]              // 00000000636C: D3B14070 1802E116
	v_pk_mul_f32 v[114:115], v[22:23], v[114:115]              // 000000006374: D3B14072 1802E516
	v_pk_mul_f32 v[116:117], v[22:23], v[116:117]              // 00000000637C: D3B14074 1802E916
	v_pk_mul_f32 v[118:119], v[22:23], v[118:119]              // 000000006384: D3B14076 1802ED16
	v_pk_mul_f32 v[120:121], v[22:23], v[120:121]              // 00000000638C: D3B14078 1802F116
	v_pk_mul_f32 v[122:123], v[22:23], v[122:123]              // 000000006394: D3B1407A 1802F516
	v_pk_mul_f32 v[124:125], v[22:23], v[124:125]              // 00000000639C: D3B1407C 1802F916
	v_pk_mul_f32 v[126:127], v[22:23], v[126:127]              // 0000000063A4: D3B1407E 1802FD16
	v_pk_mul_f32 v[128:129], v[22:23], v[128:129]              // 0000000063AC: D3B14080 18030116
	v_pk_mul_f32 v[130:131], v[22:23], v[130:131]              // 0000000063B4: D3B14082 18030516
	v_pk_mul_f32 v[132:133], v[22:23], v[132:133]              // 0000000063BC: D3B14084 18030916
	v_pk_mul_f32 v[134:135], v[22:23], v[134:135]              // 0000000063C4: D3B14086 18030D16
	v_pk_mul_f32 v[136:137], v[22:23], v[136:137]              // 0000000063CC: D3B14088 18031116
	v_pk_mul_f32 v[138:139], v[22:23], v[138:139]              // 0000000063D4: D3B1408A 18031516
	v_pk_mul_f32 v[140:141], v[22:23], v[140:141]              // 0000000063DC: D3B1408C 18031916
	v_pk_mul_f32 v[142:143], v[22:23], v[142:143]              // 0000000063E4: D3B1408E 18031D16
	v_pk_mul_f32 v[144:145], v[22:23], v[144:145]              // 0000000063EC: D3B14090 18032116
	v_pk_mul_f32 v[146:147], v[22:23], v[146:147]              // 0000000063F4: D3B14092 18032516
	v_pk_mul_f32 v[148:149], v[22:23], v[148:149]              // 0000000063FC: D3B14094 18032916
	v_pk_mul_f32 v[150:151], v[22:23], v[150:151]              // 000000006404: D3B14096 18032D16
	v_pk_mul_f32 v[152:153], v[22:23], v[152:153]              // 00000000640C: D3B14098 18033116
	v_pk_mul_f32 v[154:155], v[22:23], v[154:155]              // 000000006414: D3B1409A 18033516
	v_pk_mul_f32 v[156:157], v[22:23], v[156:157]              // 00000000641C: D3B1409C 18033916
	v_pk_mul_f32 v[158:159], v[22:23], v[158:159]              // 000000006424: D3B1409E 18033D16
	v_pk_mul_f32 v[160:161], v[22:23], v[160:161]              // 00000000642C: D3B140A0 18034116
	v_pk_mul_f32 v[162:163], v[22:23], v[162:163]              // 000000006434: D3B140A2 18034516
	v_pk_mul_f32 v[164:165], v[22:23], v[164:165]              // 00000000643C: D3B140A4 18034916
	v_pk_mul_f32 v[166:167], v[22:23], v[166:167]              // 000000006444: D3B140A6 18034D16
	v_pk_mul_f32 v[168:169], v[22:23], v[168:169]              // 00000000644C: D3B140A8 18035116
	v_pk_mul_f32 v[170:171], v[22:23], v[170:171]              // 000000006454: D3B140AA 18035516
	v_pk_mul_f32 v[172:173], v[22:23], v[172:173]              // 00000000645C: D3B140AC 18035916
	v_pk_mul_f32 v[174:175], v[22:23], v[174:175]              // 000000006464: D3B140AE 18035D16
	v_pk_mul_f32 v[176:177], v[22:23], v[176:177]              // 00000000646C: D3B140B0 18036116
	v_pk_mul_f32 v[178:179], v[22:23], v[178:179]              // 000000006474: D3B140B2 18036516
	v_pk_mul_f32 v[180:181], v[22:23], v[180:181]              // 00000000647C: D3B140B4 18036916
	v_pk_mul_f32 v[182:183], v[22:23], v[182:183]              // 000000006484: D3B140B6 18036D16
	s_waitcnt lgkmcnt(0)                                       // 00000000648C: BF8CC07F
	s_waitcnt vmcnt(18)                                        // 000000006490: BF8C4F72
	s_barrier                                                  // 000000006494: BF8A0000
	v_mfma_f32_16x16x32_fp8_fp8 v[56:59], a[72:73], v[40:41], v[56:59]// 000000006498: D3F30038 0CE25148
	v_mfma_f32_16x16x32_fp8_fp8 v[60:63], a[74:75], v[40:41], v[60:63]// 0000000064A0: D3F3003C 0CF2514A
	ds_read_b32 v20, v5 offset:18560                           // 0000000064A8: D86C4880 14000005
	ds_read_b32 v21, v5 offset:23200                           // 0000000064B0: D86C5AA0 15000005
	ds_read_b32 v22, v5 offset:27840                           // 0000000064B8: D86C6CC0 16000005
	ds_read_b32 v23, v5 offset:32480                           // 0000000064C0: D86C7EE0 17000005
	v_mfma_f32_16x16x32_fp8_fp8 v[64:67], a[76:77], v[40:41], v[64:67]// 0000000064C8: D3F30040 0D02514C
	v_mfma_f32_16x16x32_fp8_fp8 v[68:71], a[78:79], v[40:41], v[68:71]// 0000000064D0: D3F30044 0D12514E
	ds_read_b32 v24, v5 offset:18688                           // 0000000064D8: D86C4900 18000005
	ds_read_b32 v25, v5 offset:23328                           // 0000000064E0: D86C5B20 19000005
	ds_read_b32 v26, v5 offset:27968                           // 0000000064E8: D86C6D40 1A000005
	ds_read_b32 v27, v5 offset:32608                           // 0000000064F0: D86C7F60 1B000005
	v_mfma_f32_16x16x32_fp8_fp8 v[72:75], a[80:81], v[40:41], v[72:75]// 0000000064F8: D3F30048 0D225150
	v_mfma_f32_16x16x32_fp8_fp8 v[76:79], a[82:83], v[40:41], v[76:79]// 000000006500: D3F3004C 0D325152
	v_mfma_f32_16x16x32_fp8_fp8 v[80:83], a[84:85], v[40:41], v[80:83]// 000000006508: D3F30050 0D425154
	v_mfma_f32_16x16x32_fp8_fp8 v[84:87], a[86:87], v[40:41], v[84:87]// 000000006510: D3F30054 0D525156
	v_mfma_f32_16x16x32_fp8_fp8 v[88:91], a[88:89], v[40:41], v[88:91]// 000000006518: D3F30058 0D625158
	v_mfma_f32_16x16x32_fp8_fp8 v[92:95], a[90:91], v[40:41], v[92:95]// 000000006520: D3F3005C 0D72515A
	v_mfma_f32_16x16x32_fp8_fp8 v[96:99], a[92:93], v[40:41], v[96:99]// 000000006528: D3F30060 0D82515C
	v_mfma_f32_16x16x32_fp8_fp8 v[100:103], a[94:95], v[40:41], v[100:103]// 000000006530: D3F30064 0D92515E
	v_mfma_f32_16x16x32_fp8_fp8 v[104:107], a[96:97], v[40:41], v[104:107]// 000000006538: D3F30068 0DA25160
	v_mfma_f32_16x16x32_fp8_fp8 v[108:111], a[98:99], v[40:41], v[108:111]// 000000006540: D3F3006C 0DB25162
	v_mfma_f32_16x16x32_fp8_fp8 v[112:115], a[100:101], v[40:41], v[112:115]// 000000006548: D3F30070 0DC25164
	v_mfma_f32_16x16x32_fp8_fp8 v[116:119], a[102:103], v[40:41], v[116:119]// 000000006550: D3F30074 0DD25166
	v_mfma_f32_16x16x32_fp8_fp8 v[120:123], a[104:105], v[40:41], v[120:123]// 000000006558: D3F30078 0DE25168
	v_mfma_f32_16x16x32_fp8_fp8 v[124:127], a[106:107], v[40:41], v[124:127]// 000000006560: D3F3007C 0DF2516A
	v_mfma_f32_16x16x32_fp8_fp8 v[128:131], a[108:109], v[40:41], v[128:131]// 000000006568: D3F30080 0E02516C
	v_mfma_f32_16x16x32_fp8_fp8 v[132:135], a[110:111], v[40:41], v[132:135]// 000000006570: D3F30084 0E12516E
	v_mfma_f32_16x16x32_fp8_fp8 v[136:139], a[112:113], v[40:41], v[136:139]// 000000006578: D3F30088 0E225170
	v_mfma_f32_16x16x32_fp8_fp8 v[140:143], a[114:115], v[40:41], v[140:143]// 000000006580: D3F3008C 0E325172
	v_mfma_f32_16x16x32_fp8_fp8 v[144:147], a[116:117], v[40:41], v[144:147]// 000000006588: D3F30090 0E425174
	v_mfma_f32_16x16x32_fp8_fp8 v[148:151], a[118:119], v[40:41], v[148:151]// 000000006590: D3F30094 0E525176
	v_mfma_f32_16x16x32_fp8_fp8 v[152:155], a[120:121], v[40:41], v[152:155]// 000000006598: D3F30098 0E625178
	v_mfma_f32_16x16x32_fp8_fp8 v[156:159], a[122:123], v[40:41], v[156:159]// 0000000065A0: D3F3009C 0E72517A
	v_mfma_f32_16x16x32_fp8_fp8 v[160:163], a[124:125], v[40:41], v[160:163]// 0000000065A8: D3F300A0 0E82517C
	v_mfma_f32_16x16x32_fp8_fp8 v[164:167], a[126:127], v[40:41], v[164:167]// 0000000065B0: D3F300A4 0E92517E
	v_mfma_f32_16x16x32_fp8_fp8 v[168:171], a[128:129], v[40:41], v[168:171]// 0000000065B8: D3F300A8 0EA25180
	v_mfma_f32_16x16x32_fp8_fp8 v[172:175], a[130:131], v[40:41], v[172:175]// 0000000065C0: D3F300AC 0EB25182
	v_mfma_f32_16x16x32_fp8_fp8 v[176:179], a[132:133], v[40:41], v[176:179]// 0000000065C8: D3F300B0 0EC25184
	v_mfma_f32_16x16x32_fp8_fp8 v[180:183], a[134:135], v[40:41], v[180:183]// 0000000065D0: D3F300B4 0ED25186
	s_nop 8                                                    // 0000000065D8: BF800008
	s_branch label_1300                                        // 0000000065DC: BF820248

00000000000065e0 <label_10B8>:
	s_waitcnt lgkmcnt(6)                                       // 0000000065E0: BF8CC67F
	v_mfma_f32_16x16x32_fp8_fp8 v[40:43], a[72:73], a[0:1], 0  // 0000000065E4: D3F30028 1A020148
	ds_read_b128 a[104:107], v4 offset:20608                   // 0000000065EC: DBFE5080 68000004
	ds_read_b128 a[108:111], v4 offset:18688                   // 0000000065F4: DBFE4900 6C000004
	v_mfma_f32_16x16x32_fp8_fp8 v[40:43], a[74:75], a[2:3], v[40:43]// 0000000065FC: D3F30028 1CA2054A
	v_mfma_f32_16x16x32_fp8_fp8 v[40:43], a[76:77], a[4:5], v[40:43]// 000000006604: D3F30028 1CA2094C
	v_mfma_f32_16x16x32_fp8_fp8 v[40:43], a[78:79], a[6:7], v[40:43]// 00000000660C: D3F30028 1CA20D4E
	v_mfma_f32_16x16x32_fp8_fp8 v[40:43], a[80:81], a[8:9], v[40:43]// 000000006614: D3F30028 1CA21150
	ds_read_b128 a[112:115], v4 offset:18944                   // 00000000661C: DBFE4A00 70000004
	ds_read_b128 a[116:119], v4 offset:19200                   // 000000006624: DBFE4B00 74000004
	v_mfma_f32_16x16x32_fp8_fp8 v[40:43], a[82:83], a[10:11], v[40:43]// 00000000662C: D3F30028 1CA21552
	v_mfma_f32_16x16x32_fp8_fp8 v[40:43], a[84:85], a[12:13], v[40:43]// 000000006634: D3F30028 1CA21954
	v_mfma_f32_16x16x32_fp8_fp8 v[40:43], a[86:87], a[14:15], v[40:43]// 00000000663C: D3F30028 1CA21D56
	s_waitcnt lgkmcnt(6)                                       // 000000006644: BF8CC67F
	v_mfma_f32_16x16x32_fp8_fp8 v[40:43], a[88:89], a[16:17], v[40:43]// 000000006648: D3F30028 1CA22158
	ds_read_b128 a[120:123], v4 offset:19456                   // 000000006650: DBFE4C00 78000004
	ds_read_b128 a[124:127], v4 offset:19712                   // 000000006658: DBFE4D00 7C000004
	v_mfma_f32_16x16x32_fp8_fp8 v[40:43], a[90:91], a[18:19], v[40:43]// 000000006660: D3F30028 1CA2255A
	v_mfma_f32_16x16x32_fp8_fp8 v[40:43], a[92:93], a[20:21], v[40:43]// 000000006668: D3F30028 1CA2295C
	v_mfma_f32_16x16x32_fp8_fp8 v[40:43], a[94:95], a[22:23], v[40:43]// 000000006670: D3F30028 1CA22D5E
	v_mfma_f32_16x16x32_fp8_fp8 v[40:43], a[96:97], a[24:25], v[40:43]// 000000006678: D3F30028 1CA23160
	ds_read_b128 a[128:131], v4 offset:19968                   // 000000006680: DBFE4E00 80000004
	ds_read_b128 a[132:135], v4 offset:20224                   // 000000006688: DBFE4F00 84000004
	v_mfma_f32_16x16x32_fp8_fp8 v[40:43], a[98:99], a[26:27], v[40:43]// 000000006690: D3F30028 1CA23562
	v_mfma_f32_16x16x32_fp8_fp8 v[40:43], a[100:101], a[28:29], v[40:43]// 000000006698: D3F30028 1CA23964
	v_mfma_f32_16x16x32_fp8_fp8 v[40:43], a[102:103], a[30:31], v[40:43]// 0000000066A0: D3F30028 1CA23D66
	s_waitcnt lgkmcnt(6)                                       // 0000000066A8: BF8CC67F
	s_barrier                                                  // 0000000066AC: BF8A0000
	v_mfma_f32_16x16x32_fp8_fp8 v[40:43], a[104:105], a[32:33], v[40:43]// 0000000066B0: D3F30028 1CA24168
	ds_read_b128 a[136:139], v4 offset:20480                   // 0000000066B8: DBFE5000 88000004
	ds_read_b128 a[140:143], v4 offset:20736                   // 0000000066C0: DBFE5100 8C000004
	v_mfma_f32_16x16x32_fp8_fp8 v[40:43], a[106:107], a[34:35], v[40:43]// 0000000066C8: D3F30028 1CA2456A
	v_mfma_f32_16x16x32_fp8_fp8 v[44:47], a[108:109], a[0:1], 0// 0000000066D0: D3F3002C 1A02016C
	v_perm_b32 v32, v22, v20, s52                              // 0000000066D8: D1ED0020 00D22916
	v_perm_b32 v33, v22, v20, s53                              // 0000000066E0: D1ED0021 00D62916
	v_perm_b32 v34, v23, v21, s52                              // 0000000066E8: D1ED0022 00D22B17
	v_perm_b32 v35, v23, v21, s53                              // 0000000066F0: D1ED0023 00D62B17
	v_perm_b32 v28, v34, v32, s54                              // 0000000066F8: D1ED001C 00DA4122
	v_perm_b32 v36, v34, v32, s55                              // 000000006700: D1ED0024 00DE4122
	v_perm_b32 v30, v35, v33, s54                              // 000000006708: D1ED001E 00DA4323
	v_perm_b32 v38, v35, v33, s55                              // 000000006710: D1ED0026 00DE4323
	v_mfma_f32_16x16x32_fp8_fp8 v[44:47], a[110:111], a[2:3], v[44:47]// 000000006718: D3F3002C 1CB2056E
	v_mfma_f32_16x16x32_fp8_fp8 v[44:47], a[112:113], a[4:5], v[44:47]// 000000006720: D3F3002C 1CB20970
	v_perm_b32 v32, v26, v24, s52                              // 000000006728: D1ED0020 00D2311A
	v_perm_b32 v33, v26, v24, s53                              // 000000006730: D1ED0021 00D6311A
	v_perm_b32 v34, v27, v25, s52                              // 000000006738: D1ED0022 00D2331B
	v_perm_b32 v35, v27, v25, s53                              // 000000006740: D1ED0023 00D6331B
	v_perm_b32 v29, v34, v32, s54                              // 000000006748: D1ED001D 00DA4122
	v_perm_b32 v37, v34, v32, s55                              // 000000006750: D1ED0025 00DE4122
	v_perm_b32 v31, v35, v33, s54                              // 000000006758: D1ED001F 00DA4323
	v_perm_b32 v39, v35, v33, s55                              // 000000006760: D1ED0027 00DE4323
	v_mfma_f32_16x16x32_fp8_fp8 v[44:47], a[114:115], a[6:7], v[44:47]// 000000006768: D3F3002C 1CB20D72
	v_mfma_f32_16x16x32_fp8_fp8 v[44:47], a[116:117], a[8:9], v[44:47]// 000000006770: D3F3002C 1CB21174
	ds_write_b128 v6, v[28:31] offset:45312                    // 000000006778: D9BEB100 00001C06
	v_mfma_f32_16x16x32_fp8_fp8 v[44:47], a[118:119], a[10:11], v[44:47]// 000000006780: D3F3002C 1CB21576
	s_waitcnt lgkmcnt(1)                                       // 000000006788: BF8CC17F
	v_mfma_f32_16x16x32_fp8_fp8 v[44:47], a[120:121], a[12:13], v[44:47]// 00000000678C: D3F3002C 1CB21978
	v_mfma_f32_16x16x32_fp8_fp8 v[44:47], a[122:123], a[14:15], v[44:47]// 000000006794: D3F3002C 1CB21D7A
	v_mfma_f32_16x16x32_fp8_fp8 v[44:47], a[124:125], a[16:17], v[44:47]// 00000000679C: D3F3002C 1CB2217C
	v_mfma_f32_16x16x32_fp8_fp8 v[44:47], a[126:127], a[18:19], v[44:47]// 0000000067A4: D3F3002C 1CB2257E
	v_mfma_f32_16x16x32_fp8_fp8 v[44:47], a[128:129], a[20:21], v[44:47]// 0000000067AC: D3F3002C 1CB22980
	v_mfma_f32_16x16x32_fp8_fp8 v[44:47], a[130:131], a[22:23], v[44:47]// 0000000067B4: D3F3002C 1CB22D82
	v_mfma_f32_16x16x32_fp8_fp8 v[44:47], a[132:133], a[24:25], v[44:47]// 0000000067BC: D3F3002C 1CB23184
	ds_write_b128 v6, v[36:39] offset:46336                    // 0000000067C4: D9BEB500 00002406
	v_mfma_f32_16x16x32_fp8_fp8 v[44:47], a[134:135], a[26:27], v[44:47]// 0000000067CC: D3F3002C 1CB23586
	v_mfma_f32_16x16x32_fp8_fp8 v[44:47], a[136:137], a[28:29], v[44:47]// 0000000067D4: D3F3002C 1CB23988
	v_mfma_f32_16x16x32_fp8_fp8 v[44:47], a[138:139], a[30:31], v[44:47]// 0000000067DC: D3F3002C 1CB23D8A
	v_mfma_f32_16x16x32_fp8_fp8 v[44:47], a[140:141], a[32:33], v[44:47]// 0000000067E4: D3F3002C 1CB2418C
	v_mfma_f32_16x16x32_fp8_fp8 v[44:47], a[142:143], a[34:35], v[44:47]// 0000000067EC: D3F3002C 1CB2458E
	s_cmp_le_i32 s83, s82                                      // 0000000067F4: BF055253
	s_cbranch_scc1 label_117B                                  // 0000000067F8: BF85003C
	v_mov_b32_e32 v25, 0xff800000                              // 0000000067FC: 7E3202FF FF800000
	s_add_u32 s57, s82, 0                                      // 000000006804: 80398052
	v_mov_b32_e32 v24, s57                                     // 000000006808: 7E300239
	v_add_u32_e32 v24, s7, v24                                 // 00000000680C: 68303007
	s_sub_u32 s56, s83, 31                                     // 000000006810: 80B89F53
	v_lshrrev_b32_e32 v20, 4, v0                               // 000000006814: 20280084
	v_mul_i32_i24_e32 v20, 4, v20                              // 000000006818: 0C282884
	v_add_u32_e32 v20, s56, v20                                // 00000000681C: 68282838
	v_add_u32_e32 v21, 1, v20                                  // 000000006820: 682A2881
	v_add_u32_e32 v22, 2, v20                                  // 000000006824: 682C2882
	v_add_u32_e32 v23, 3, v20                                  // 000000006828: 682E2883
	v_cmp_le_u32_e64 s[38:39], v20, v24                        // 00000000682C: D0CB0026 00023114
	v_add_u32_e32 v20, 16, v20                                 // 000000006834: 68282890
	s_nop 0                                                    // 000000006838: BF800000
	v_cndmask_b32_e64 v40, v25, v40, s[38:39]                  // 00000000683C: D1000028 009A5119
	v_cmp_le_u32_e64 s[38:39], v21, v24                        // 000000006844: D0CB0026 00023115
	v_add_u32_e32 v21, 16, v21                                 // 00000000684C: 682A2A90
	s_nop 0                                                    // 000000006850: BF800000
	v_cndmask_b32_e64 v41, v25, v41, s[38:39]                  // 000000006854: D1000029 009A5319
	v_cmp_le_u32_e64 s[38:39], v22, v24                        // 00000000685C: D0CB0026 00023116
	v_add_u32_e32 v22, 16, v22                                 // 000000006864: 682C2C90
	s_nop 0                                                    // 000000006868: BF800000
	v_cndmask_b32_e64 v42, v25, v42, s[38:39]                  // 00000000686C: D100002A 009A5519
	v_cmp_le_u32_e64 s[38:39], v23, v24                        // 000000006874: D0CB0026 00023117
	v_add_u32_e32 v23, 16, v23                                 // 00000000687C: 682E2E90
	s_nop 0                                                    // 000000006880: BF800000
	v_cndmask_b32_e64 v43, v25, v43, s[38:39]                  // 000000006884: D100002B 009A5719
	v_cmp_le_u32_e64 s[38:39], v20, v24                        // 00000000688C: D0CB0026 00023114
	v_add_u32_e32 v20, 16, v20                                 // 000000006894: 68282890
	s_nop 0                                                    // 000000006898: BF800000
	v_cndmask_b32_e64 v44, v25, v44, s[38:39]                  // 00000000689C: D100002C 009A5919
	v_cmp_le_u32_e64 s[38:39], v21, v24                        // 0000000068A4: D0CB0026 00023115
	v_add_u32_e32 v21, 16, v21                                 // 0000000068AC: 682A2A90
	s_nop 0                                                    // 0000000068B0: BF800000
	v_cndmask_b32_e64 v45, v25, v45, s[38:39]                  // 0000000068B4: D100002D 009A5B19
	v_cmp_le_u32_e64 s[38:39], v22, v24                        // 0000000068BC: D0CB0026 00023116
	v_add_u32_e32 v22, 16, v22                                 // 0000000068C4: 682C2C90
	s_nop 0                                                    // 0000000068C8: BF800000
	v_cndmask_b32_e64 v46, v25, v46, s[38:39]                  // 0000000068CC: D100002E 009A5D19
	v_cmp_le_u32_e64 s[38:39], v23, v24                        // 0000000068D4: D0CB0026 00023117
	v_add_u32_e32 v23, 16, v23                                 // 0000000068DC: 682E2E90
	s_nop 0                                                    // 0000000068E0: BF800000
	v_cndmask_b32_e64 v47, v25, v47, s[38:39]                  // 0000000068E4: D100002F 009A5F19

00000000000068ec <label_117B>:
	buffer_load_dword v19, s[20:23], 0 offen offset:256 lds    // 0000000068EC: E0511100 80050013
	s_add_u32 m0, 0x3c0, s36                                   // 0000000068F4: 807C24FF 000003C0
	v_mov_b32_e32 v25, 0xff800000                              // 0000000068FC: 7E3202FF FF800000
	s_and_b32 s56, s48, 0xff                                   // 000000006904: 8638FF30 000000FF
	v_mov_b32_e32 v24, s56                                     // 00000000690C: 7E300238
	v_lshrrev_b32_e32 v20, 4, v0                               // 000000006910: 20280084
	v_mul_i32_i24_e32 v20, 4, v20                              // 000000006914: 0C282884
	v_add_u32_e32 v21, 1, v20                                  // 000000006918: 682A2881
	v_add_u32_e32 v22, 2, v20                                  // 00000000691C: 682C2882
	v_add_u32_e32 v23, 3, v20                                  // 000000006920: 682E2883
	v_cmp_lt_u32_e64 s[38:39], v20, v24                        // 000000006924: D0C90026 00023114
	v_add_u32_e32 v20, 16, v20                                 // 00000000692C: 68282890
	s_nop 0                                                    // 000000006930: BF800000
	v_cndmask_b32_e64 v40, v25, v40, s[38:39]                  // 000000006934: D1000028 009A5119
	v_cmp_lt_u32_e64 s[38:39], v21, v24                        // 00000000693C: D0C90026 00023115
	v_add_u32_e32 v21, 16, v21                                 // 000000006944: 682A2A90
	s_nop 0                                                    // 000000006948: BF800000
	v_cndmask_b32_e64 v41, v25, v41, s[38:39]                  // 00000000694C: D1000029 009A5319
	v_cmp_lt_u32_e64 s[38:39], v22, v24                        // 000000006954: D0C90026 00023116
	v_add_u32_e32 v22, 16, v22                                 // 00000000695C: 682C2C90
	s_nop 0                                                    // 000000006960: BF800000
	v_cndmask_b32_e64 v42, v25, v42, s[38:39]                  // 000000006964: D100002A 009A5519
	v_cmp_lt_u32_e64 s[38:39], v23, v24                        // 00000000696C: D0C90026 00023117
	v_add_u32_e32 v23, 16, v23                                 // 000000006974: 682E2E90
	s_nop 0                                                    // 000000006978: BF800000
	v_cndmask_b32_e64 v43, v25, v43, s[38:39]                  // 00000000697C: D100002B 009A5719
	v_cmp_lt_u32_e64 s[38:39], v20, v24                        // 000000006984: D0C90026 00023114
	v_add_u32_e32 v20, 16, v20                                 // 00000000698C: 68282890
	s_nop 0                                                    // 000000006990: BF800000
	v_cndmask_b32_e64 v44, v25, v44, s[38:39]                  // 000000006994: D100002C 009A5919
	v_cmp_lt_u32_e64 s[38:39], v21, v24                        // 00000000699C: D0C90026 00023115
	v_add_u32_e32 v21, 16, v21                                 // 0000000069A4: 682A2A90
	s_nop 0                                                    // 0000000069A8: BF800000
	v_cndmask_b32_e64 v45, v25, v45, s[38:39]                  // 0000000069AC: D100002D 009A5B19
	v_cmp_lt_u32_e64 s[38:39], v22, v24                        // 0000000069B4: D0C90026 00023116
	v_add_u32_e32 v22, 16, v22                                 // 0000000069BC: 682C2C90
	s_nop 0                                                    // 0000000069C0: BF800000
	v_cndmask_b32_e64 v46, v25, v46, s[38:39]                  // 0000000069C4: D100002E 009A5D19
	v_cmp_lt_u32_e64 s[38:39], v23, v24                        // 0000000069CC: D0C90026 00023117
	v_add_u32_e32 v23, 16, v23                                 // 0000000069D4: 682E2E90
	s_nop 0                                                    // 0000000069D8: BF800000
	v_cndmask_b32_e64 v47, v25, v47, s[38:39]                  // 0000000069DC: D100002F 009A5F19
	v_max3_f32 v24, v40, v41, v40                              // 0000000069E4: D1D30018 04A25328
	v_max3_f32 v24, v42, v43, v24                              // 0000000069EC: D1D30018 0462572A
	v_max3_f32 v24, v44, v45, v24                              // 0000000069F4: D1D30018 04625B2C
	v_max3_f32 v24, v46, v47, v24                              // 0000000069FC: D1D30018 04625F2E
	ds_write_b32 v3, v24 offset:53504                          // 000000006A04: D81AD100 00001803
	s_waitcnt lgkmcnt(0)                                       // 000000006A0C: BF8CC07F
	ds_read_b32 v20, v2 offset:53504                           // 000000006A10: D86CD100 14000002
	ds_read_b32 v21, v2 offset:53568                           // 000000006A18: D86CD140 15000002
	ds_read_b32 v22, v2 offset:53632                           // 000000006A20: D86CD180 16000002
	ds_read_b32 v23, v2 offset:53696                           // 000000006A28: D86CD1C0 17000002
	s_waitcnt lgkmcnt(0)                                       // 000000006A30: BF8CC07F
	ds_read_b128 a[72:75], v7 offset:37120                     // 000000006A34: DBFE9100 48000007
	ds_read_b128 a[76:79], v7 offset:38144                     // 000000006A3C: DBFE9500 4C000007
	v_max3_f32 v24, v20, v21, v24                              // 000000006A44: D1D30018 04622B14
	v_max3_f32 v24, v22, v23, v24                              // 000000006A4C: D1D30018 04622F16
	ds_read_b128 a[80:83], v7 offset:39168                     // 000000006A54: DBFE9900 50000007
	ds_read_b128 a[84:87], v7 offset:40192                     // 000000006A5C: DBFE9D00 54000007
	v_mov_b32_e32 v25, 0xff7fffff                              // 000000006A64: 7E3202FF FF7FFFFF
	v_cmp_eq_u32_e64 s[38:39], v25, v12                        // 000000006A6C: D0CA0026 00021919
	v_max_f32_e32 v20, v24, v12                                // 000000006A74: 16281918
	v_sub_f32_e32 v16, v12, v20                                // 000000006A78: 0420290C
	v_cndmask_b32_e64 v16, v16, 0, s[38:39]                    // 000000006A7C: D1000010 00990110
	v_mov_b32_e32 v12, v20                                     // 000000006A84: 7E180314
	ds_read_b128 a[88:91], v7 offset:41216                     // 000000006A88: DBFEA100 58000007
	ds_read_b128 a[92:95], v7 offset:42240                     // 000000006A90: DBFEA500 5C000007
	v_mul_f32_e32 v21, s5, v20                                 // 000000006A98: 0A2A2805
	v_mul_f32_e32 v16, s5, v16                                 // 000000006A9C: 0A202005
	v_exp_f32_e32 v16, v16                                     // 000000006AA0: 7E204110
	v_fma_f32 v40, v40, s5, -v21                               // 000000006AA4: D1CB0028 84540B28
	v_fma_f32 v41, v41, s5, -v21                               // 000000006AAC: D1CB0029 84540B29
	v_fma_f32 v42, v42, s5, -v21                               // 000000006AB4: D1CB002A 84540B2A
	v_fma_f32 v43, v43, s5, -v21                               // 000000006ABC: D1CB002B 84540B2B
	v_fma_f32 v44, v44, s5, -v21                               // 000000006AC4: D1CB002C 84540B2C
	v_fma_f32 v45, v45, s5, -v21                               // 000000006ACC: D1CB002D 84540B2D
	v_fma_f32 v46, v46, s5, -v21                               // 000000006AD4: D1CB002E 84540B2E
	v_fma_f32 v47, v47, s5, -v21                               // 000000006ADC: D1CB002F 84540B2F
	ds_read_b128 a[96:99], v7 offset:43264                     // 000000006AE4: DBFEA900 60000007
	ds_read_b128 a[100:103], v7 offset:44288                   // 000000006AEC: DBFEAD00 64000007
	v_exp_f32_e32 v40, v40                                     // 000000006AF4: 7E504128
	v_exp_f32_e32 v41, v41                                     // 000000006AF8: 7E524129
	v_exp_f32_e32 v42, v42                                     // 000000006AFC: 7E54412A
	v_exp_f32_e32 v43, v43                                     // 000000006B00: 7E56412B
	v_exp_f32_e32 v44, v44                                     // 000000006B04: 7E58412C
	v_exp_f32_e32 v45, v45                                     // 000000006B08: 7E5A412D
	v_exp_f32_e32 v46, v46                                     // 000000006B0C: 7E5C412E
	v_exp_f32_e32 v47, v47                                     // 000000006B10: 7E5E412F
	v_mul_f32_e32 v14, v16, v14                                // 000000006B14: 0A1C1D10
	v_mov_b32_e32 v22, v40                                     // 000000006B18: 7E2C0328
	ds_read_b128 a[104:107], v7 offset:45312                   // 000000006B1C: DBFEB100 68000007
	ds_read_b128 a[108:111], v7 offset:46336                   // 000000006B24: DBFEB500 6C000007
	v_add_f32_e32 v22, v41, v22                                // 000000006B2C: 022C2D29
	v_add_f32_e32 v22, v42, v22                                // 000000006B30: 022C2D2A
	v_add_f32_e32 v22, v43, v22                                // 000000006B34: 022C2D2B
	v_add_f32_e32 v22, v44, v22                                // 000000006B38: 022C2D2C
	v_add_f32_e32 v22, v45, v22                                // 000000006B3C: 022C2D2D
	v_add_f32_e32 v22, v46, v22                                // 000000006B40: 022C2D2E
	v_add_f32_e32 v22, v47, v22                                // 000000006B44: 022C2D2F
	v_add_f32_e32 v14, v22, v14                                // 000000006B48: 021C1D16
	ds_read_b128 a[112:115], v7 offset:47360                   // 000000006B4C: DBFEB900 70000007
	ds_read_b128 a[116:119], v7 offset:48384                   // 000000006B54: DBFEBD00 74000007
	v_cvt_pk_fp8_f32 v40, v40, v41                             // 000000006B5C: D2A20028 00025328
	v_cvt_pk_fp8_f32 v40, v42, v43 op_sel:[0,0,1]              // 000000006B64: D2A24028 0002572A
	v_cvt_pk_fp8_f32 v41, v44, v45                             // 000000006B6C: D2A20029 00025B2C
	v_cvt_pk_fp8_f32 v41, v46, v47 op_sel:[0,0,1]              // 000000006B74: D2A24029 00025F2E
	s_add_u32 s83, s84, s83                                    // 000000006B7C: 80535354
	ds_read_b128 a[120:123], v7 offset:49408                   // 000000006B80: DBFEC100 78000007
	ds_read_b128 a[124:127], v7 offset:50432                   // 000000006B88: DBFEC500 7C000007
	s_nop 0                                                    // 000000006B90: BF800000
	ds_read_b128 a[128:131], v7 offset:51456                   // 000000006B94: DBFEC900 80000007
	ds_read_b128 a[132:135], v7 offset:52480                   // 000000006B9C: DBFECD00 84000007
	v_mov_b32_e32 v22, v16                                     // 000000006BA4: 7E2C0310
	v_mov_b32_e32 v23, v16                                     // 000000006BA8: 7E2E0310
	v_pk_mul_f32 v[56:57], v[22:23], v[56:57]                  // 000000006BAC: D3B14038 18027116
	v_pk_mul_f32 v[58:59], v[22:23], v[58:59]                  // 000000006BB4: D3B1403A 18027516
	v_pk_mul_f32 v[60:61], v[22:23], v[60:61]                  // 000000006BBC: D3B1403C 18027916
	v_pk_mul_f32 v[62:63], v[22:23], v[62:63]                  // 000000006BC4: D3B1403E 18027D16
	v_pk_mul_f32 v[64:65], v[22:23], v[64:65]                  // 000000006BCC: D3B14040 18028116
	v_pk_mul_f32 v[66:67], v[22:23], v[66:67]                  // 000000006BD4: D3B14042 18028516
	v_pk_mul_f32 v[68:69], v[22:23], v[68:69]                  // 000000006BDC: D3B14044 18028916
	v_pk_mul_f32 v[70:71], v[22:23], v[70:71]                  // 000000006BE4: D3B14046 18028D16
	v_pk_mul_f32 v[72:73], v[22:23], v[72:73]                  // 000000006BEC: D3B14048 18029116
	v_pk_mul_f32 v[74:75], v[22:23], v[74:75]                  // 000000006BF4: D3B1404A 18029516
	v_pk_mul_f32 v[76:77], v[22:23], v[76:77]                  // 000000006BFC: D3B1404C 18029916
	v_pk_mul_f32 v[78:79], v[22:23], v[78:79]                  // 000000006C04: D3B1404E 18029D16
	v_pk_mul_f32 v[80:81], v[22:23], v[80:81]                  // 000000006C0C: D3B14050 1802A116
	v_pk_mul_f32 v[82:83], v[22:23], v[82:83]                  // 000000006C14: D3B14052 1802A516
	v_pk_mul_f32 v[84:85], v[22:23], v[84:85]                  // 000000006C1C: D3B14054 1802A916
	v_pk_mul_f32 v[86:87], v[22:23], v[86:87]                  // 000000006C24: D3B14056 1802AD16
	v_pk_mul_f32 v[88:89], v[22:23], v[88:89]                  // 000000006C2C: D3B14058 1802B116
	v_pk_mul_f32 v[90:91], v[22:23], v[90:91]                  // 000000006C34: D3B1405A 1802B516
	v_pk_mul_f32 v[92:93], v[22:23], v[92:93]                  // 000000006C3C: D3B1405C 1802B916
	v_pk_mul_f32 v[94:95], v[22:23], v[94:95]                  // 000000006C44: D3B1405E 1802BD16
	v_pk_mul_f32 v[96:97], v[22:23], v[96:97]                  // 000000006C4C: D3B14060 1802C116
	v_pk_mul_f32 v[98:99], v[22:23], v[98:99]                  // 000000006C54: D3B14062 1802C516
	v_pk_mul_f32 v[100:101], v[22:23], v[100:101]              // 000000006C5C: D3B14064 1802C916
	v_pk_mul_f32 v[102:103], v[22:23], v[102:103]              // 000000006C64: D3B14066 1802CD16
	v_pk_mul_f32 v[104:105], v[22:23], v[104:105]              // 000000006C6C: D3B14068 1802D116
	v_pk_mul_f32 v[106:107], v[22:23], v[106:107]              // 000000006C74: D3B1406A 1802D516
	v_pk_mul_f32 v[108:109], v[22:23], v[108:109]              // 000000006C7C: D3B1406C 1802D916
	v_pk_mul_f32 v[110:111], v[22:23], v[110:111]              // 000000006C84: D3B1406E 1802DD16
	v_pk_mul_f32 v[112:113], v[22:23], v[112:113]              // 000000006C8C: D3B14070 1802E116
	v_pk_mul_f32 v[114:115], v[22:23], v[114:115]              // 000000006C94: D3B14072 1802E516
	v_pk_mul_f32 v[116:117], v[22:23], v[116:117]              // 000000006C9C: D3B14074 1802E916
	v_pk_mul_f32 v[118:119], v[22:23], v[118:119]              // 000000006CA4: D3B14076 1802ED16
	v_pk_mul_f32 v[120:121], v[22:23], v[120:121]              // 000000006CAC: D3B14078 1802F116
	v_pk_mul_f32 v[122:123], v[22:23], v[122:123]              // 000000006CB4: D3B1407A 1802F516
	v_pk_mul_f32 v[124:125], v[22:23], v[124:125]              // 000000006CBC: D3B1407C 1802F916
	v_pk_mul_f32 v[126:127], v[22:23], v[126:127]              // 000000006CC4: D3B1407E 1802FD16
	v_pk_mul_f32 v[128:129], v[22:23], v[128:129]              // 000000006CCC: D3B14080 18030116
	v_pk_mul_f32 v[130:131], v[22:23], v[130:131]              // 000000006CD4: D3B14082 18030516
	v_pk_mul_f32 v[132:133], v[22:23], v[132:133]              // 000000006CDC: D3B14084 18030916
	v_pk_mul_f32 v[134:135], v[22:23], v[134:135]              // 000000006CE4: D3B14086 18030D16
	v_pk_mul_f32 v[136:137], v[22:23], v[136:137]              // 000000006CEC: D3B14088 18031116
	v_pk_mul_f32 v[138:139], v[22:23], v[138:139]              // 000000006CF4: D3B1408A 18031516
	v_pk_mul_f32 v[140:141], v[22:23], v[140:141]              // 000000006CFC: D3B1408C 18031916
	v_pk_mul_f32 v[142:143], v[22:23], v[142:143]              // 000000006D04: D3B1408E 18031D16
	v_pk_mul_f32 v[144:145], v[22:23], v[144:145]              // 000000006D0C: D3B14090 18032116
	v_pk_mul_f32 v[146:147], v[22:23], v[146:147]              // 000000006D14: D3B14092 18032516
	v_pk_mul_f32 v[148:149], v[22:23], v[148:149]              // 000000006D1C: D3B14094 18032916
	v_pk_mul_f32 v[150:151], v[22:23], v[150:151]              // 000000006D24: D3B14096 18032D16
	v_pk_mul_f32 v[152:153], v[22:23], v[152:153]              // 000000006D2C: D3B14098 18033116
	v_pk_mul_f32 v[154:155], v[22:23], v[154:155]              // 000000006D34: D3B1409A 18033516
	v_pk_mul_f32 v[156:157], v[22:23], v[156:157]              // 000000006D3C: D3B1409C 18033916
	v_pk_mul_f32 v[158:159], v[22:23], v[158:159]              // 000000006D44: D3B1409E 18033D16
	v_pk_mul_f32 v[160:161], v[22:23], v[160:161]              // 000000006D4C: D3B140A0 18034116
	v_pk_mul_f32 v[162:163], v[22:23], v[162:163]              // 000000006D54: D3B140A2 18034516
	v_pk_mul_f32 v[164:165], v[22:23], v[164:165]              // 000000006D5C: D3B140A4 18034916
	v_pk_mul_f32 v[166:167], v[22:23], v[166:167]              // 000000006D64: D3B140A6 18034D16
	v_pk_mul_f32 v[168:169], v[22:23], v[168:169]              // 000000006D6C: D3B140A8 18035116
	v_pk_mul_f32 v[170:171], v[22:23], v[170:171]              // 000000006D74: D3B140AA 18035516
	v_pk_mul_f32 v[172:173], v[22:23], v[172:173]              // 000000006D7C: D3B140AC 18035916
	v_pk_mul_f32 v[174:175], v[22:23], v[174:175]              // 000000006D84: D3B140AE 18035D16
	v_pk_mul_f32 v[176:177], v[22:23], v[176:177]              // 000000006D8C: D3B140B0 18036116
	v_pk_mul_f32 v[178:179], v[22:23], v[178:179]              // 000000006D94: D3B140B2 18036516
	v_pk_mul_f32 v[180:181], v[22:23], v[180:181]              // 000000006D9C: D3B140B4 18036916
	v_pk_mul_f32 v[182:183], v[22:23], v[182:183]              // 000000006DA4: D3B140B6 18036D16
	s_waitcnt lgkmcnt(0)                                       // 000000006DAC: BF8CC07F
	s_waitcnt vmcnt(18)                                        // 000000006DB0: BF8C4F72
	s_barrier                                                  // 000000006DB4: BF8A0000
	v_mfma_f32_16x16x32_fp8_fp8 v[56:59], a[72:73], v[40:41], v[56:59]// 000000006DB8: D3F30038 0CE25148
	v_mfma_f32_16x16x32_fp8_fp8 v[60:63], a[74:75], v[40:41], v[60:63]// 000000006DC0: D3F3003C 0CF2514A
	ds_read_b32 v20, v5                                        // 000000006DC8: D86C0000 14000005
	ds_read_b32 v21, v5 offset:4640                            // 000000006DD0: D86C1220 15000005
	ds_read_b32 v22, v5 offset:9280                            // 000000006DD8: D86C2440 16000005
	ds_read_b32 v23, v5 offset:13920                           // 000000006DE0: D86C3660 17000005
	v_mfma_f32_16x16x32_fp8_fp8 v[64:67], a[76:77], v[40:41], v[64:67]// 000000006DE8: D3F30040 0D02514C
	v_mfma_f32_16x16x32_fp8_fp8 v[68:71], a[78:79], v[40:41], v[68:71]// 000000006DF0: D3F30044 0D12514E
	ds_read_b32 v24, v5 offset:128                             // 000000006DF8: D86C0080 18000005
	ds_read_b32 v25, v5 offset:4768                            // 000000006E00: D86C12A0 19000005
	ds_read_b32 v26, v5 offset:9408                            // 000000006E08: D86C24C0 1A000005
	ds_read_b32 v27, v5 offset:14048                           // 000000006E10: D86C36E0 1B000005
	v_mfma_f32_16x16x32_fp8_fp8 v[72:75], a[80:81], v[40:41], v[72:75]// 000000006E18: D3F30048 0D225150
	v_mfma_f32_16x16x32_fp8_fp8 v[76:79], a[82:83], v[40:41], v[76:79]// 000000006E20: D3F3004C 0D325152
	v_mfma_f32_16x16x32_fp8_fp8 v[80:83], a[84:85], v[40:41], v[80:83]// 000000006E28: D3F30050 0D425154
	v_mfma_f32_16x16x32_fp8_fp8 v[84:87], a[86:87], v[40:41], v[84:87]// 000000006E30: D3F30054 0D525156
	v_mfma_f32_16x16x32_fp8_fp8 v[88:91], a[88:89], v[40:41], v[88:91]// 000000006E38: D3F30058 0D625158
	v_mfma_f32_16x16x32_fp8_fp8 v[92:95], a[90:91], v[40:41], v[92:95]// 000000006E40: D3F3005C 0D72515A
	v_mfma_f32_16x16x32_fp8_fp8 v[96:99], a[92:93], v[40:41], v[96:99]// 000000006E48: D3F30060 0D82515C
	v_mfma_f32_16x16x32_fp8_fp8 v[100:103], a[94:95], v[40:41], v[100:103]// 000000006E50: D3F30064 0D92515E
	v_mfma_f32_16x16x32_fp8_fp8 v[104:107], a[96:97], v[40:41], v[104:107]// 000000006E58: D3F30068 0DA25160
	v_mfma_f32_16x16x32_fp8_fp8 v[108:111], a[98:99], v[40:41], v[108:111]// 000000006E60: D3F3006C 0DB25162
	v_mfma_f32_16x16x32_fp8_fp8 v[112:115], a[100:101], v[40:41], v[112:115]// 000000006E68: D3F30070 0DC25164
	v_mfma_f32_16x16x32_fp8_fp8 v[116:119], a[102:103], v[40:41], v[116:119]// 000000006E70: D3F30074 0DD25166
	v_mfma_f32_16x16x32_fp8_fp8 v[120:123], a[104:105], v[40:41], v[120:123]// 000000006E78: D3F30078 0DE25168
	v_mfma_f32_16x16x32_fp8_fp8 v[124:127], a[106:107], v[40:41], v[124:127]// 000000006E80: D3F3007C 0DF2516A
	v_mfma_f32_16x16x32_fp8_fp8 v[128:131], a[108:109], v[40:41], v[128:131]// 000000006E88: D3F30080 0E02516C
	v_mfma_f32_16x16x32_fp8_fp8 v[132:135], a[110:111], v[40:41], v[132:135]// 000000006E90: D3F30084 0E12516E
	v_mfma_f32_16x16x32_fp8_fp8 v[136:139], a[112:113], v[40:41], v[136:139]// 000000006E98: D3F30088 0E225170
	v_mfma_f32_16x16x32_fp8_fp8 v[140:143], a[114:115], v[40:41], v[140:143]// 000000006EA0: D3F3008C 0E325172
	v_mfma_f32_16x16x32_fp8_fp8 v[144:147], a[116:117], v[40:41], v[144:147]// 000000006EA8: D3F30090 0E425174
	v_mfma_f32_16x16x32_fp8_fp8 v[148:151], a[118:119], v[40:41], v[148:151]// 000000006EB0: D3F30094 0E525176
	v_mfma_f32_16x16x32_fp8_fp8 v[152:155], a[120:121], v[40:41], v[152:155]// 000000006EB8: D3F30098 0E625178
	v_mfma_f32_16x16x32_fp8_fp8 v[156:159], a[122:123], v[40:41], v[156:159]// 000000006EC0: D3F3009C 0E72517A
	v_mfma_f32_16x16x32_fp8_fp8 v[160:163], a[124:125], v[40:41], v[160:163]// 000000006EC8: D3F300A0 0E82517C
	v_mfma_f32_16x16x32_fp8_fp8 v[164:167], a[126:127], v[40:41], v[164:167]// 000000006ED0: D3F300A4 0E92517E
	v_mfma_f32_16x16x32_fp8_fp8 v[168:171], a[128:129], v[40:41], v[168:171]// 000000006ED8: D3F300A8 0EA25180
	v_mfma_f32_16x16x32_fp8_fp8 v[172:175], a[130:131], v[40:41], v[172:175]// 000000006EE0: D3F300AC 0EB25182
	v_mfma_f32_16x16x32_fp8_fp8 v[176:179], a[132:133], v[40:41], v[176:179]// 000000006EE8: D3F300B0 0EC25184
	v_mfma_f32_16x16x32_fp8_fp8 v[180:183], a[134:135], v[40:41], v[180:183]// 000000006EF0: D3F300B4 0ED25186
	s_nop 8                                                    // 000000006EF8: BF800008
	s_branch label_1300                                        // 000000006EFC: BF820000

0000000000006f00 <label_1300>:
	ds_write_b32 v3, v14 offset:55552                          // 000000006F00: D81AD900 00000E03
	ds_write_b32 v3, v15 offset:56576                          // 000000006F08: D81ADD00 00000F03
	s_waitcnt lgkmcnt(0)                                       // 000000006F10: BF8CC07F
	ds_read_b32 v20, v2 offset:55552                           // 000000006F14: D86CD900 14000002
	ds_read_b32 v21, v2 offset:55616                           // 000000006F1C: D86CD940 15000002
	ds_read_b32 v22, v2 offset:55680                           // 000000006F24: D86CD980 16000002
	ds_read_b32 v23, v2 offset:55744                           // 000000006F2C: D86CD9C0 17000002
	ds_read_b32 v24, v2 offset:56576                           // 000000006F34: D86CDD00 18000002
	ds_read_b32 v25, v2 offset:56640                           // 000000006F3C: D86CDD40 19000002
	ds_read_b32 v26, v2 offset:56704                           // 000000006F44: D86CDD80 1A000002
	ds_read_b32 v27, v2 offset:56768                           // 000000006F4C: D86CDDC0 1B000002
	s_waitcnt lgkmcnt(0)                                       // 000000006F54: BF8CC07F
	v_mov_b32_e32 v14, 0                                       // 000000006F58: 7E1C0280
	v_mov_b32_e32 v15, 0                                       // 000000006F5C: 7E1E0280
	v_add_f32_e32 v14, v20, v14                                // 000000006F60: 021C1D14
	v_add_f32_e32 v15, v24, v15                                // 000000006F64: 021E1F18
	v_add_f32_e32 v14, v21, v14                                // 000000006F68: 021C1D15
	v_add_f32_e32 v15, v25, v15                                // 000000006F6C: 021E1F19
	v_add_f32_e32 v14, v22, v14                                // 000000006F70: 021C1D16
	v_add_f32_e32 v15, v26, v15                                // 000000006F74: 021E1F1A
	v_add_f32_e32 v14, v23, v14                                // 000000006F78: 021C1D17
	v_add_f32_e32 v15, v27, v15                                // 000000006F7C: 021E1F1B
	v_mov_b32_e32 v20, 0                                       // 000000006F80: 7E280280
	v_cmp_eq_u32_e64 s[38:39], v20, v14                        // 000000006F84: D0CA0026 00021D14
	v_cmp_eq_u32_e64 s[40:41], v20, v15                        // 000000006F8C: D0CA0028 00021F14
	v_mul_f32_e64 v20, v12, s64                                // 000000006F94: D1050014 0000810C
	v_mul_f32_e64 v22, v13, s64                                // 000000006F9C: D1050016 0000810D
	v_log_f32_e32 v21, v14                                     // 000000006FA4: 7E2A430E
	v_log_f32_e32 v23, v15                                     // 000000006FA8: 7E2E430F
	v_cndmask_b32_e64 v14, v14, 1.0, s[38:39]                  // 000000006FAC: D100000E 0099E50E
	v_cndmask_b32_e64 v15, v15, 1.0, s[40:41]                  // 000000006FB4: D100000F 00A1E50F
	s_nop 1                                                    // 000000006FBC: BF800001
	v_rcp_f32_e32 v14, v14                                     // 000000006FC0: 7E1C450E
	v_rcp_f32_e32 v15, v15                                     // 000000006FC4: 7E1E450F
	s_nop 1                                                    // 000000006FC8: BF800001
	v_fma_f32 v24, v21, s63, v20                               // 000000006FCC: D1CB0018 04507F15
	v_fma_f32 v25, v23, s63, v22                               // 000000006FD4: D1CB0019 04587F17
	v_mul_f32_e32 v56, v14, v56                                // 000000006FDC: 0A70710E
	v_mul_f32_e32 v57, v14, v57                                // 000000006FE0: 0A72730E
	v_mul_f32_e32 v58, v14, v58                                // 000000006FE4: 0A74750E
	v_mul_f32_e32 v59, v14, v59                                // 000000006FE8: 0A76770E
	v_mul_f32_e32 v60, v14, v60                                // 000000006FEC: 0A78790E
	v_mul_f32_e32 v61, v14, v61                                // 000000006FF0: 0A7A7B0E
	v_mul_f32_e32 v62, v14, v62                                // 000000006FF4: 0A7C7D0E
	v_mul_f32_e32 v63, v14, v63                                // 000000006FF8: 0A7E7F0E
	v_mul_f32_e32 v64, v14, v64                                // 000000006FFC: 0A80810E
	v_mul_f32_e32 v65, v14, v65                                // 000000007000: 0A82830E
	v_mul_f32_e32 v66, v14, v66                                // 000000007004: 0A84850E
	v_mul_f32_e32 v67, v14, v67                                // 000000007008: 0A86870E
	v_mul_f32_e32 v68, v14, v68                                // 00000000700C: 0A88890E
	v_mul_f32_e32 v69, v14, v69                                // 000000007010: 0A8A8B0E
	v_mul_f32_e32 v70, v14, v70                                // 000000007014: 0A8C8D0E
	v_mul_f32_e32 v71, v14, v71                                // 000000007018: 0A8E8F0E
	v_mul_f32_e32 v72, v14, v72                                // 00000000701C: 0A90910E
	v_mul_f32_e32 v73, v14, v73                                // 000000007020: 0A92930E
	v_mul_f32_e32 v74, v14, v74                                // 000000007024: 0A94950E
	v_mul_f32_e32 v75, v14, v75                                // 000000007028: 0A96970E
	v_mul_f32_e32 v76, v14, v76                                // 00000000702C: 0A98990E
	v_mul_f32_e32 v77, v14, v77                                // 000000007030: 0A9A9B0E
	v_mul_f32_e32 v78, v14, v78                                // 000000007034: 0A9C9D0E
	v_mul_f32_e32 v79, v14, v79                                // 000000007038: 0A9E9F0E
	v_mul_f32_e32 v80, v14, v80                                // 00000000703C: 0AA0A10E
	v_mul_f32_e32 v81, v14, v81                                // 000000007040: 0AA2A30E
	v_mul_f32_e32 v82, v14, v82                                // 000000007044: 0AA4A50E
	v_mul_f32_e32 v83, v14, v83                                // 000000007048: 0AA6A70E
	v_mul_f32_e32 v84, v14, v84                                // 00000000704C: 0AA8A90E
	v_mul_f32_e32 v85, v14, v85                                // 000000007050: 0AAAAB0E
	v_mul_f32_e32 v86, v14, v86                                // 000000007054: 0AACAD0E
	v_mul_f32_e32 v87, v14, v87                                // 000000007058: 0AAEAF0E
	v_mul_f32_e32 v88, v14, v88                                // 00000000705C: 0AB0B10E
	v_mul_f32_e32 v89, v14, v89                                // 000000007060: 0AB2B30E
	v_mul_f32_e32 v90, v14, v90                                // 000000007064: 0AB4B50E
	v_mul_f32_e32 v91, v14, v91                                // 000000007068: 0AB6B70E
	v_mul_f32_e32 v92, v14, v92                                // 00000000706C: 0AB8B90E
	v_mul_f32_e32 v93, v14, v93                                // 000000007070: 0ABABB0E
	v_mul_f32_e32 v94, v14, v94                                // 000000007074: 0ABCBD0E
	v_mul_f32_e32 v95, v14, v95                                // 000000007078: 0ABEBF0E
	v_mul_f32_e32 v96, v14, v96                                // 00000000707C: 0AC0C10E
	v_mul_f32_e32 v97, v14, v97                                // 000000007080: 0AC2C30E
	v_mul_f32_e32 v98, v14, v98                                // 000000007084: 0AC4C50E
	v_mul_f32_e32 v99, v14, v99                                // 000000007088: 0AC6C70E
	v_mul_f32_e32 v100, v14, v100                              // 00000000708C: 0AC8C90E
	v_mul_f32_e32 v101, v14, v101                              // 000000007090: 0ACACB0E
	v_mul_f32_e32 v102, v14, v102                              // 000000007094: 0ACCCD0E
	v_mul_f32_e32 v103, v14, v103                              // 000000007098: 0ACECF0E
	v_mul_f32_e32 v104, v14, v104                              // 00000000709C: 0AD0D10E
	v_mul_f32_e32 v105, v14, v105                              // 0000000070A0: 0AD2D30E
	v_mul_f32_e32 v106, v14, v106                              // 0000000070A4: 0AD4D50E
	v_mul_f32_e32 v107, v14, v107                              // 0000000070A8: 0AD6D70E
	v_mul_f32_e32 v108, v14, v108                              // 0000000070AC: 0AD8D90E
	v_mul_f32_e32 v109, v14, v109                              // 0000000070B0: 0ADADB0E
	v_mul_f32_e32 v110, v14, v110                              // 0000000070B4: 0ADCDD0E
	v_mul_f32_e32 v111, v14, v111                              // 0000000070B8: 0ADEDF0E
	v_mul_f32_e32 v112, v14, v112                              // 0000000070BC: 0AE0E10E
	v_mul_f32_e32 v113, v14, v113                              // 0000000070C0: 0AE2E30E
	v_mul_f32_e32 v114, v14, v114                              // 0000000070C4: 0AE4E50E
	v_mul_f32_e32 v115, v14, v115                              // 0000000070C8: 0AE6E70E
	v_mul_f32_e32 v116, v14, v116                              // 0000000070CC: 0AE8E90E
	v_mul_f32_e32 v117, v14, v117                              // 0000000070D0: 0AEAEB0E
	v_mul_f32_e32 v118, v14, v118                              // 0000000070D4: 0AECED0E
	v_mul_f32_e32 v119, v14, v119                              // 0000000070D8: 0AEEEF0E
	v_mul_f32_e32 v120, v14, v120                              // 0000000070DC: 0AF0F10E
	v_mul_f32_e32 v121, v14, v121                              // 0000000070E0: 0AF2F30E
	v_mul_f32_e32 v122, v14, v122                              // 0000000070E4: 0AF4F50E
	v_mul_f32_e32 v123, v14, v123                              // 0000000070E8: 0AF6F70E
	v_mul_f32_e32 v124, v14, v124                              // 0000000070EC: 0AF8F90E
	v_mul_f32_e32 v125, v14, v125                              // 0000000070F0: 0AFAFB0E
	v_mul_f32_e32 v126, v14, v126                              // 0000000070F4: 0AFCFD0E
	v_mul_f32_e32 v127, v14, v127                              // 0000000070F8: 0AFEFF0E
	v_mul_f32_e32 v128, v14, v128                              // 0000000070FC: 0B01010E
	v_mul_f32_e32 v129, v14, v129                              // 000000007100: 0B03030E
	v_mul_f32_e32 v130, v14, v130                              // 000000007104: 0B05050E
	v_mul_f32_e32 v131, v14, v131                              // 000000007108: 0B07070E
	v_mul_f32_e32 v132, v14, v132                              // 00000000710C: 0B09090E
	v_mul_f32_e32 v133, v14, v133                              // 000000007110: 0B0B0B0E
	v_mul_f32_e32 v134, v14, v134                              // 000000007114: 0B0D0D0E
	v_mul_f32_e32 v135, v14, v135                              // 000000007118: 0B0F0F0E
	v_mul_f32_e32 v136, v14, v136                              // 00000000711C: 0B11110E
	v_mul_f32_e32 v137, v14, v137                              // 000000007120: 0B13130E
	v_mul_f32_e32 v138, v14, v138                              // 000000007124: 0B15150E
	v_mul_f32_e32 v139, v14, v139                              // 000000007128: 0B17170E
	v_mul_f32_e32 v140, v14, v140                              // 00000000712C: 0B19190E
	v_mul_f32_e32 v141, v14, v141                              // 000000007130: 0B1B1B0E
	v_mul_f32_e32 v142, v14, v142                              // 000000007134: 0B1D1D0E
	v_mul_f32_e32 v143, v14, v143                              // 000000007138: 0B1F1F0E
	v_mul_f32_e32 v144, v14, v144                              // 00000000713C: 0B21210E
	v_mul_f32_e32 v145, v14, v145                              // 000000007140: 0B23230E
	v_mul_f32_e32 v146, v14, v146                              // 000000007144: 0B25250E
	v_mul_f32_e32 v147, v14, v147                              // 000000007148: 0B27270E
	v_mul_f32_e32 v148, v14, v148                              // 00000000714C: 0B29290E
	v_mul_f32_e32 v149, v14, v149                              // 000000007150: 0B2B2B0E
	v_mul_f32_e32 v150, v14, v150                              // 000000007154: 0B2D2D0E
	v_mul_f32_e32 v151, v14, v151                              // 000000007158: 0B2F2F0E
	v_mul_f32_e32 v152, v14, v152                              // 00000000715C: 0B31310E
	v_mul_f32_e32 v153, v14, v153                              // 000000007160: 0B33330E
	v_mul_f32_e32 v154, v14, v154                              // 000000007164: 0B35350E
	v_mul_f32_e32 v155, v14, v155                              // 000000007168: 0B37370E
	v_mul_f32_e32 v156, v14, v156                              // 00000000716C: 0B39390E
	v_mul_f32_e32 v157, v14, v157                              // 000000007170: 0B3B3B0E
	v_mul_f32_e32 v158, v14, v158                              // 000000007174: 0B3D3D0E
	v_mul_f32_e32 v159, v14, v159                              // 000000007178: 0B3F3F0E
	v_mul_f32_e32 v160, v14, v160                              // 00000000717C: 0B41410E
	v_mul_f32_e32 v161, v14, v161                              // 000000007180: 0B43430E
	v_mul_f32_e32 v162, v14, v162                              // 000000007184: 0B45450E
	v_mul_f32_e32 v163, v14, v163                              // 000000007188: 0B47470E
	v_mul_f32_e32 v164, v14, v164                              // 00000000718C: 0B49490E
	v_mul_f32_e32 v165, v14, v165                              // 000000007190: 0B4B4B0E
	v_mul_f32_e32 v166, v14, v166                              // 000000007194: 0B4D4D0E
	v_mul_f32_e32 v167, v14, v167                              // 000000007198: 0B4F4F0E
	v_mul_f32_e32 v168, v14, v168                              // 00000000719C: 0B51510E
	v_mul_f32_e32 v169, v14, v169                              // 0000000071A0: 0B53530E
	v_mul_f32_e32 v170, v14, v170                              // 0000000071A4: 0B55550E
	v_mul_f32_e32 v171, v14, v171                              // 0000000071A8: 0B57570E
	v_mul_f32_e32 v172, v14, v172                              // 0000000071AC: 0B59590E
	v_mul_f32_e32 v173, v14, v173                              // 0000000071B0: 0B5B5B0E
	v_mul_f32_e32 v174, v14, v174                              // 0000000071B4: 0B5D5D0E
	v_mul_f32_e32 v175, v14, v175                              // 0000000071B8: 0B5F5F0E
	v_mul_f32_e32 v176, v14, v176                              // 0000000071BC: 0B61610E
	v_mul_f32_e32 v177, v14, v177                              // 0000000071C0: 0B63630E
	v_mul_f32_e32 v178, v14, v178                              // 0000000071C4: 0B65650E
	v_mul_f32_e32 v179, v14, v179                              // 0000000071C8: 0B67670E
	v_mul_f32_e32 v180, v14, v180                              // 0000000071CC: 0B69690E
	v_mul_f32_e32 v181, v14, v181                              // 0000000071D0: 0B6B6B0E
	v_mul_f32_e32 v182, v14, v182                              // 0000000071D4: 0B6D6D0E
	v_mul_f32_e32 v183, v14, v183                              // 0000000071D8: 0B6F6F0E
	s_cmp_le_u32 s67, 1                                        // 0000000071DC: BF0B8143
	s_cbranch_scc0 label_193A                                  // 0000000071E0: BF840581
	s_mul_i32 s75, 0x400, s65                                  // 0000000071E4: 924B41FF 00000400
	s_mul_i32 s76, s67, s75                                    // 0000000071EC: 924C4B43
	s_add_u32 s56, s80, s79                                    // 0000000071F0: 80384F50
	v_mov_b32_e32 v20, s56                                     // 0000000071F4: 7E280238
	v_mul_lo_u32 v21, s76, v20                                 // 0000000071F8: D2850015 0002284C
	v_mul_hi_u32 v22, s76, v20                                 // 000000007200: D2860016 0002284C
	s_nop 2                                                    // 000000007208: BF800002
	v_readfirstlane_b32 s56, v21                               // 00000000720C: 7E700515
	v_readfirstlane_b32 s57, v22                               // 000000007210: 7E720516
	s_nop 4                                                    // 000000007214: BF800004
	s_add_u32 s8, s56, s8                                      // 000000007218: 80080838
	s_addc_u32 s9, s57, s9                                     // 00000000721C: 82090939
	s_sub_u32 s56, s81, s80                                    // 000000007220: 80B85051
	s_mul_i32 s56, s56, s76                                    // 000000007224: 92384C38
	s_mov_b32 s10, s56                                         // 000000007228: BE8A0038
	v_and_b32_e32 v20, 7, v0                                   // 00000000722C: 26280087
	v_lshlrev_b32_e32 v18, 4, v20                              // 000000007230: 24242884
	v_lshrrev_b32_e32 v20, 3, v0                               // 000000007234: 20280083
	v_mul_i32_i24_e32 v20, 0x400, v20                          // 000000007238: 0C2828FF 00000400
	v_add_u32_e32 v18, v18, v20                                // 000000007240: 68242912
	s_mul_i32 s56, s4, s75                                     // 000000007244: 92384B04
	v_add_u32_e64 v18, v18, s56                                // 000000007248: D1340012 00007112
	s_mul_i32 s56, s7, s76                                     // 000000007250: 92384C07
	v_add_u32_e64 v18, v18, s56                                // 000000007254: D1340012 00007112
	v_mov_b32_e32 v19, v18                                     // 00000000725C: 7E260312
	s_waitcnt vmcnt(0) lgkmcnt(0)                              // 000000007260: BF8C0070
	s_barrier                                                  // 000000007264: BF8A0000
	s_mul_i32 s75, 0x400, s65                                  // 000000007268: 924B41FF 00000400
	s_mul_i32 s76, s67, s75                                    // 000000007270: 924C4B43
	v_lshrrev_b32_e32 v20, 4, v0                               // 000000007274: 20280084
	v_mul_i32_i24_e32 v5, 0x48, v20                            // 000000007278: 0C0A28FF 00000048
	v_and_b32_e32 v20, 15, v0                                  // 000000007280: 2628008F
	v_mul_i32_i24_e32 v20, 2, v20                              // 000000007284: 0C282882
	v_add_u32_e32 v5, v20, v5                                  // 000000007288: 680A0B14
	s_mul_i32 s56, s7, 0x480                                   // 00000000728C: 9238FF07 00000480
	v_add_u32_e32 v5, s56, v5                                  // 000000007294: 680A0A38
	v_lshlrev_b32_e32 v5, 2, v5                                // 000000007298: 240A0A82
	v_lshrrev_b32_e32 v20, 3, v0                               // 00000000729C: 20280083
	v_mul_i32_i24_e32 v4, 2, v20                               // 0000000072A0: 0C082882
	v_and_b32_e32 v20, 7, v0                                   // 0000000072A4: 26280087
	v_mul_i32_i24_e32 v20, 36, v20                             // 0000000072A8: 0C2828A4
	v_add_u32_e32 v4, v20, v4                                  // 0000000072AC: 68080914
	s_mul_i32 s56, s7, 0x480                                   // 0000000072B0: 9238FF07 00000480
	v_add_u32_e32 v4, s56, v4                                  // 0000000072B8: 68080838
	v_lshlrev_b32_e32 v4, 2, v4                                // 0000000072BC: 24080882
	v_mov_b32_e32 v37, 0xffff0000                              // 0000000072C0: 7E4A02FF FFFF0000
	v_mov_b32_e32 v38, 0x7fff0000                              // 0000000072C8: 7E4C02FF 7FFF0000
	v_mov_b32_e32 v39, 0x7fff                                  // 0000000072D0: 7E4E02FF 00007FFF
	s_mul_i32 s56, 0, s76                                      // 0000000072D8: 92384C80
	v_add_u32_e64 v19, v19, s56                                // 0000000072DC: D1340013 00007113
	v_mov_b32_e32 v24, v56                                     // 0000000072E4: 7E300338
	v_mov_b32_e32 v25, v60                                     // 0000000072E8: 7E32033C
	v_mov_b32_e32 v26, v64                                     // 0000000072EC: 7E340340
	v_mov_b32_e32 v27, v68                                     // 0000000072F0: 7E360344
	v_mul_f32_e32 v24, s43, v24                                // 0000000072F4: 0A30302B
	v_mul_f32_e32 v25, s43, v25                                // 0000000072F8: 0A32322B
	v_mul_f32_e32 v26, s43, v26                                // 0000000072FC: 0A34342B
	v_mul_f32_e32 v27, s43, v27                                // 000000007300: 0A36362B
	v_cmp_u_f32_e64 s[38:39], v24, v24                         // 000000007304: D0480026 00023118
	v_add3_u32 v36, v24, v39, 1                                // 00000000730C: D1FF0024 02064F18
	v_cndmask_b32_e64 v20, v36, v38, s[38:39]                  // 000000007314: D1000014 009A4D24
	v_cmp_u_f32_e64 s[38:39], v25, v25                         // 00000000731C: D0480026 00023319
	v_add3_u32 v36, v25, v39, 1                                // 000000007324: D1FF0024 02064F19
	v_cndmask_b32_e64 v21, v36, v38, s[38:39]                  // 00000000732C: D1000015 009A4D24
	v_perm_b32 v24, v21, v20, s51                              // 000000007334: D1ED0018 00CE2915
	v_cmp_u_f32_e64 s[38:39], v26, v26                         // 00000000733C: D0480026 0002351A
	v_add3_u32 v36, v26, v39, 1                                // 000000007344: D1FF0024 02064F1A
	v_cndmask_b32_e64 v20, v36, v38, s[38:39]                  // 00000000734C: D1000014 009A4D24
	v_cmp_u_f32_e64 s[38:39], v27, v27                         // 000000007354: D0480026 0002371B
	v_add3_u32 v36, v27, v39, 1                                // 00000000735C: D1FF0024 02064F1B
	v_cndmask_b32_e64 v21, v36, v38, s[38:39]                  // 000000007364: D1000015 009A4D24
	v_perm_b32 v25, v21, v20, s51                              // 00000000736C: D1ED0019 00CE2915
	ds_write_b64 v5, v[24:25]                                  // 000000007374: D89A0000 00001805
	v_mov_b32_e32 v24, v57                                     // 00000000737C: 7E300339
	v_mov_b32_e32 v25, v61                                     // 000000007380: 7E32033D
	v_mov_b32_e32 v26, v65                                     // 000000007384: 7E340341
	v_mov_b32_e32 v27, v69                                     // 000000007388: 7E360345
	v_mul_f32_e32 v24, s43, v24                                // 00000000738C: 0A30302B
	v_mul_f32_e32 v25, s43, v25                                // 000000007390: 0A32322B
	v_mul_f32_e32 v26, s43, v26                                // 000000007394: 0A34342B
	v_mul_f32_e32 v27, s43, v27                                // 000000007398: 0A36362B
	v_cmp_u_f32_e64 s[38:39], v24, v24                         // 00000000739C: D0480026 00023118
	v_add3_u32 v36, v24, v39, 1                                // 0000000073A4: D1FF0024 02064F18
	v_cndmask_b32_e64 v20, v36, v38, s[38:39]                  // 0000000073AC: D1000014 009A4D24
	v_cmp_u_f32_e64 s[38:39], v25, v25                         // 0000000073B4: D0480026 00023319
	v_add3_u32 v36, v25, v39, 1                                // 0000000073BC: D1FF0024 02064F19
	v_cndmask_b32_e64 v21, v36, v38, s[38:39]                  // 0000000073C4: D1000015 009A4D24
	v_perm_b32 v24, v21, v20, s51                              // 0000000073CC: D1ED0018 00CE2915
	v_cmp_u_f32_e64 s[38:39], v26, v26                         // 0000000073D4: D0480026 0002351A
	v_add3_u32 v36, v26, v39, 1                                // 0000000073DC: D1FF0024 02064F1A
	v_cndmask_b32_e64 v20, v36, v38, s[38:39]                  // 0000000073E4: D1000014 009A4D24
	v_cmp_u_f32_e64 s[38:39], v27, v27                         // 0000000073EC: D0480026 0002371B
	v_add3_u32 v36, v27, v39, 1                                // 0000000073F4: D1FF0024 02064F1B
	v_cndmask_b32_e64 v21, v36, v38, s[38:39]                  // 0000000073FC: D1000015 009A4D24
	v_perm_b32 v25, v21, v20, s51                              // 000000007404: D1ED0019 00CE2915
	ds_write_b64 v5, v[24:25] offset:1152                      // 00000000740C: D89A0480 00001805
	v_mov_b32_e32 v24, v58                                     // 000000007414: 7E30033A
	v_mov_b32_e32 v25, v62                                     // 000000007418: 7E32033E
	v_mov_b32_e32 v26, v66                                     // 00000000741C: 7E340342
	v_mov_b32_e32 v27, v70                                     // 000000007420: 7E360346
	v_mul_f32_e32 v24, s43, v24                                // 000000007424: 0A30302B
	v_mul_f32_e32 v25, s43, v25                                // 000000007428: 0A32322B
	v_mul_f32_e32 v26, s43, v26                                // 00000000742C: 0A34342B
	v_mul_f32_e32 v27, s43, v27                                // 000000007430: 0A36362B
	v_cmp_u_f32_e64 s[38:39], v24, v24                         // 000000007434: D0480026 00023118
	v_add3_u32 v36, v24, v39, 1                                // 00000000743C: D1FF0024 02064F18
	v_cndmask_b32_e64 v20, v36, v38, s[38:39]                  // 000000007444: D1000014 009A4D24
	v_cmp_u_f32_e64 s[38:39], v25, v25                         // 00000000744C: D0480026 00023319
	v_add3_u32 v36, v25, v39, 1                                // 000000007454: D1FF0024 02064F19
	v_cndmask_b32_e64 v21, v36, v38, s[38:39]                  // 00000000745C: D1000015 009A4D24
	v_perm_b32 v24, v21, v20, s51                              // 000000007464: D1ED0018 00CE2915
	v_cmp_u_f32_e64 s[38:39], v26, v26                         // 00000000746C: D0480026 0002351A
	v_add3_u32 v36, v26, v39, 1                                // 000000007474: D1FF0024 02064F1A
	v_cndmask_b32_e64 v20, v36, v38, s[38:39]                  // 00000000747C: D1000014 009A4D24
	v_cmp_u_f32_e64 s[38:39], v27, v27                         // 000000007484: D0480026 0002371B
	v_add3_u32 v36, v27, v39, 1                                // 00000000748C: D1FF0024 02064F1B
	v_cndmask_b32_e64 v21, v36, v38, s[38:39]                  // 000000007494: D1000015 009A4D24
	v_perm_b32 v25, v21, v20, s51                              // 00000000749C: D1ED0019 00CE2915
	ds_write_b64 v5, v[24:25] offset:144                       // 0000000074A4: D89A0090 00001805
	v_mov_b32_e32 v24, v59                                     // 0000000074AC: 7E30033B
	v_mov_b32_e32 v25, v63                                     // 0000000074B0: 7E32033F
	v_mov_b32_e32 v26, v67                                     // 0000000074B4: 7E340343
	v_mov_b32_e32 v27, v71                                     // 0000000074B8: 7E360347
	v_mul_f32_e32 v24, s43, v24                                // 0000000074BC: 0A30302B
	v_mul_f32_e32 v25, s43, v25                                // 0000000074C0: 0A32322B
	v_mul_f32_e32 v26, s43, v26                                // 0000000074C4: 0A34342B
	v_mul_f32_e32 v27, s43, v27                                // 0000000074C8: 0A36362B
	v_cmp_u_f32_e64 s[38:39], v24, v24                         // 0000000074CC: D0480026 00023118
	v_add3_u32 v36, v24, v39, 1                                // 0000000074D4: D1FF0024 02064F18
	v_cndmask_b32_e64 v20, v36, v38, s[38:39]                  // 0000000074DC: D1000014 009A4D24
	v_cmp_u_f32_e64 s[38:39], v25, v25                         // 0000000074E4: D0480026 00023319
	v_add3_u32 v36, v25, v39, 1                                // 0000000074EC: D1FF0024 02064F19
	v_cndmask_b32_e64 v21, v36, v38, s[38:39]                  // 0000000074F4: D1000015 009A4D24
	v_perm_b32 v24, v21, v20, s51                              // 0000000074FC: D1ED0018 00CE2915
	v_cmp_u_f32_e64 s[38:39], v26, v26                         // 000000007504: D0480026 0002351A
	v_add3_u32 v36, v26, v39, 1                                // 00000000750C: D1FF0024 02064F1A
	v_cndmask_b32_e64 v20, v36, v38, s[38:39]                  // 000000007514: D1000014 009A4D24
	v_cmp_u_f32_e64 s[38:39], v27, v27                         // 00000000751C: D0480026 0002371B
	v_add3_u32 v36, v27, v39, 1                                // 000000007524: D1FF0024 02064F1B
	v_cndmask_b32_e64 v21, v36, v38, s[38:39]                  // 00000000752C: D1000015 009A4D24
	v_perm_b32 v25, v21, v20, s51                              // 000000007534: D1ED0019 00CE2915
	ds_write_b64 v5, v[24:25] offset:1296                      // 00000000753C: D89A0510 00001805
	v_mov_b32_e32 v24, v72                                     // 000000007544: 7E300348
	v_mov_b32_e32 v25, v76                                     // 000000007548: 7E32034C
	v_mov_b32_e32 v26, v80                                     // 00000000754C: 7E340350
	v_mov_b32_e32 v27, v84                                     // 000000007550: 7E360354
	v_mul_f32_e32 v24, s43, v24                                // 000000007554: 0A30302B
	v_mul_f32_e32 v25, s43, v25                                // 000000007558: 0A32322B
	v_mul_f32_e32 v26, s43, v26                                // 00000000755C: 0A34342B
	v_mul_f32_e32 v27, s43, v27                                // 000000007560: 0A36362B
	v_cmp_u_f32_e64 s[38:39], v24, v24                         // 000000007564: D0480026 00023118
	v_add3_u32 v36, v24, v39, 1                                // 00000000756C: D1FF0024 02064F18
	v_cndmask_b32_e64 v20, v36, v38, s[38:39]                  // 000000007574: D1000014 009A4D24
	v_cmp_u_f32_e64 s[38:39], v25, v25                         // 00000000757C: D0480026 00023319
	v_add3_u32 v36, v25, v39, 1                                // 000000007584: D1FF0024 02064F19
	v_cndmask_b32_e64 v21, v36, v38, s[38:39]                  // 00000000758C: D1000015 009A4D24
	v_perm_b32 v24, v21, v20, s51                              // 000000007594: D1ED0018 00CE2915
	v_cmp_u_f32_e64 s[38:39], v26, v26                         // 00000000759C: D0480026 0002351A
	v_add3_u32 v36, v26, v39, 1                                // 0000000075A4: D1FF0024 02064F1A
	v_cndmask_b32_e64 v20, v36, v38, s[38:39]                  // 0000000075AC: D1000014 009A4D24
	v_cmp_u_f32_e64 s[38:39], v27, v27                         // 0000000075B4: D0480026 0002371B
	v_add3_u32 v36, v27, v39, 1                                // 0000000075BC: D1FF0024 02064F1B
	v_cndmask_b32_e64 v21, v36, v38, s[38:39]                  // 0000000075C4: D1000015 009A4D24
	v_perm_b32 v25, v21, v20, s51                              // 0000000075CC: D1ED0019 00CE2915
	ds_write_b64 v5, v[24:25] offset:2304                      // 0000000075D4: D89A0900 00001805
	v_mov_b32_e32 v24, v73                                     // 0000000075DC: 7E300349
	v_mov_b32_e32 v25, v77                                     // 0000000075E0: 7E32034D
	v_mov_b32_e32 v26, v81                                     // 0000000075E4: 7E340351
	v_mov_b32_e32 v27, v85                                     // 0000000075E8: 7E360355
	v_mul_f32_e32 v24, s43, v24                                // 0000000075EC: 0A30302B
	v_mul_f32_e32 v25, s43, v25                                // 0000000075F0: 0A32322B
	v_mul_f32_e32 v26, s43, v26                                // 0000000075F4: 0A34342B
	v_mul_f32_e32 v27, s43, v27                                // 0000000075F8: 0A36362B
	v_cmp_u_f32_e64 s[38:39], v24, v24                         // 0000000075FC: D0480026 00023118
	v_add3_u32 v36, v24, v39, 1                                // 000000007604: D1FF0024 02064F18
	v_cndmask_b32_e64 v20, v36, v38, s[38:39]                  // 00000000760C: D1000014 009A4D24
	v_cmp_u_f32_e64 s[38:39], v25, v25                         // 000000007614: D0480026 00023319
	v_add3_u32 v36, v25, v39, 1                                // 00000000761C: D1FF0024 02064F19
	v_cndmask_b32_e64 v21, v36, v38, s[38:39]                  // 000000007624: D1000015 009A4D24
	v_perm_b32 v24, v21, v20, s51                              // 00000000762C: D1ED0018 00CE2915
	v_cmp_u_f32_e64 s[38:39], v26, v26                         // 000000007634: D0480026 0002351A
	v_add3_u32 v36, v26, v39, 1                                // 00000000763C: D1FF0024 02064F1A
	v_cndmask_b32_e64 v20, v36, v38, s[38:39]                  // 000000007644: D1000014 009A4D24
	v_cmp_u_f32_e64 s[38:39], v27, v27                         // 00000000764C: D0480026 0002371B
	v_add3_u32 v36, v27, v39, 1                                // 000000007654: D1FF0024 02064F1B
	v_cndmask_b32_e64 v21, v36, v38, s[38:39]                  // 00000000765C: D1000015 009A4D24
	v_perm_b32 v25, v21, v20, s51                              // 000000007664: D1ED0019 00CE2915
	ds_write_b64 v5, v[24:25] offset:3456                      // 00000000766C: D89A0D80 00001805
	v_mov_b32_e32 v24, v74                                     // 000000007674: 7E30034A
	v_mov_b32_e32 v25, v78                                     // 000000007678: 7E32034E
	v_mov_b32_e32 v26, v82                                     // 00000000767C: 7E340352
	v_mov_b32_e32 v27, v86                                     // 000000007680: 7E360356
	v_mul_f32_e32 v24, s43, v24                                // 000000007684: 0A30302B
	v_mul_f32_e32 v25, s43, v25                                // 000000007688: 0A32322B
	v_mul_f32_e32 v26, s43, v26                                // 00000000768C: 0A34342B
	v_mul_f32_e32 v27, s43, v27                                // 000000007690: 0A36362B
	v_cmp_u_f32_e64 s[38:39], v24, v24                         // 000000007694: D0480026 00023118
	v_add3_u32 v36, v24, v39, 1                                // 00000000769C: D1FF0024 02064F18
	v_cndmask_b32_e64 v20, v36, v38, s[38:39]                  // 0000000076A4: D1000014 009A4D24
	v_cmp_u_f32_e64 s[38:39], v25, v25                         // 0000000076AC: D0480026 00023319
	v_add3_u32 v36, v25, v39, 1                                // 0000000076B4: D1FF0024 02064F19
	v_cndmask_b32_e64 v21, v36, v38, s[38:39]                  // 0000000076BC: D1000015 009A4D24
	v_perm_b32 v24, v21, v20, s51                              // 0000000076C4: D1ED0018 00CE2915
	v_cmp_u_f32_e64 s[38:39], v26, v26                         // 0000000076CC: D0480026 0002351A
	v_add3_u32 v36, v26, v39, 1                                // 0000000076D4: D1FF0024 02064F1A
	v_cndmask_b32_e64 v20, v36, v38, s[38:39]                  // 0000000076DC: D1000014 009A4D24
	v_cmp_u_f32_e64 s[38:39], v27, v27                         // 0000000076E4: D0480026 0002371B
	v_add3_u32 v36, v27, v39, 1                                // 0000000076EC: D1FF0024 02064F1B
	v_cndmask_b32_e64 v21, v36, v38, s[38:39]                  // 0000000076F4: D1000015 009A4D24
	v_perm_b32 v25, v21, v20, s51                              // 0000000076FC: D1ED0019 00CE2915
	ds_write_b64 v5, v[24:25] offset:2448                      // 000000007704: D89A0990 00001805
	v_mov_b32_e32 v24, v75                                     // 00000000770C: 7E30034B
	v_mov_b32_e32 v25, v79                                     // 000000007710: 7E32034F
	v_mov_b32_e32 v26, v83                                     // 000000007714: 7E340353
	v_mov_b32_e32 v27, v87                                     // 000000007718: 7E360357
	v_mul_f32_e32 v24, s43, v24                                // 00000000771C: 0A30302B
	v_mul_f32_e32 v25, s43, v25                                // 000000007720: 0A32322B
	v_mul_f32_e32 v26, s43, v26                                // 000000007724: 0A34342B
	v_mul_f32_e32 v27, s43, v27                                // 000000007728: 0A36362B
	v_cmp_u_f32_e64 s[38:39], v24, v24                         // 00000000772C: D0480026 00023118
	v_add3_u32 v36, v24, v39, 1                                // 000000007734: D1FF0024 02064F18
	v_cndmask_b32_e64 v20, v36, v38, s[38:39]                  // 00000000773C: D1000014 009A4D24
	v_cmp_u_f32_e64 s[38:39], v25, v25                         // 000000007744: D0480026 00023319
	v_add3_u32 v36, v25, v39, 1                                // 00000000774C: D1FF0024 02064F19
	v_cndmask_b32_e64 v21, v36, v38, s[38:39]                  // 000000007754: D1000015 009A4D24
	v_perm_b32 v24, v21, v20, s51                              // 00000000775C: D1ED0018 00CE2915
	v_cmp_u_f32_e64 s[38:39], v26, v26                         // 000000007764: D0480026 0002351A
	v_add3_u32 v36, v26, v39, 1                                // 00000000776C: D1FF0024 02064F1A
	v_cndmask_b32_e64 v20, v36, v38, s[38:39]                  // 000000007774: D1000014 009A4D24
	v_cmp_u_f32_e64 s[38:39], v27, v27                         // 00000000777C: D0480026 0002371B
	v_add3_u32 v36, v27, v39, 1                                // 000000007784: D1FF0024 02064F1B
	v_cndmask_b32_e64 v21, v36, v38, s[38:39]                  // 00000000778C: D1000015 009A4D24
	v_perm_b32 v25, v21, v20, s51                              // 000000007794: D1ED0019 00CE2915
	ds_write_b64 v5, v[24:25] offset:3600                      // 00000000779C: D89A0E10 00001805
	s_waitcnt lgkmcnt(4)                                       // 0000000077A4: BF8CC47F
	ds_read_b64 v[56:57], v4                                   // 0000000077A8: D8EC0000 38000004
	ds_read_b64 v[60:61], v4 offset:64                         // 0000000077B0: D8EC0040 3C000004
	ds_read_b64 v[58:59], v4 offset:1152                       // 0000000077B8: D8EC0480 3A000004
	ds_read_b64 v[62:63], v4 offset:1216                       // 0000000077C0: D8EC04C0 3E000004
	s_waitcnt lgkmcnt(4)                                       // 0000000077C8: BF8CC47F
	ds_read_b64 v[64:65], v4 offset:2304                       // 0000000077CC: D8EC0900 40000004
	ds_read_b64 v[68:69], v4 offset:2368                       // 0000000077D4: D8EC0940 44000004
	ds_read_b64 v[66:67], v4 offset:3456                       // 0000000077DC: D8EC0D80 42000004
	ds_read_b64 v[70:71], v4 offset:3520                       // 0000000077E4: D8EC0DC0 46000004
	s_waitcnt lgkmcnt(0)                                       // 0000000077EC: BF8CC07F
	v_mov_b32_e32 v18, v19                                     // 0000000077F0: 7E240313
	buffer_store_dwordx4 v[56:59], v18, s[8:11], 0 offen       // 0000000077F4: E07C1000 80023812
	buffer_store_dwordx4 v[64:67], v18, s[8:11], 0 offen offset:128// 0000000077FC: E07C1080 80024012
	v_add_u32_e32 v18, 0x2000, v18                             // 000000007804: 682424FF 00002000
	buffer_store_dwordx4 v[60:63], v18, s[8:11], 0 offen       // 00000000780C: E07C1000 80023C12
	buffer_store_dwordx4 v[68:71], v18, s[8:11], 0 offen offset:128// 000000007814: E07C1080 80024412
	v_add_u32_e32 v18, 0x2000, v18                             // 00000000781C: 682424FF 00002000
	v_mov_b32_e32 v24, v88                                     // 000000007824: 7E300358
	v_mov_b32_e32 v25, v92                                     // 000000007828: 7E32035C
	v_mov_b32_e32 v26, v96                                     // 00000000782C: 7E340360
	v_mov_b32_e32 v27, v100                                    // 000000007830: 7E360364
	v_mul_f32_e32 v24, s43, v24                                // 000000007834: 0A30302B
	v_mul_f32_e32 v25, s43, v25                                // 000000007838: 0A32322B
	v_mul_f32_e32 v26, s43, v26                                // 00000000783C: 0A34342B
	v_mul_f32_e32 v27, s43, v27                                // 000000007840: 0A36362B
	v_cmp_u_f32_e64 s[38:39], v24, v24                         // 000000007844: D0480026 00023118
	v_add3_u32 v36, v24, v39, 1                                // 00000000784C: D1FF0024 02064F18
	v_cndmask_b32_e64 v20, v36, v38, s[38:39]                  // 000000007854: D1000014 009A4D24
	v_cmp_u_f32_e64 s[38:39], v25, v25                         // 00000000785C: D0480026 00023319
	v_add3_u32 v36, v25, v39, 1                                // 000000007864: D1FF0024 02064F19
	v_cndmask_b32_e64 v21, v36, v38, s[38:39]                  // 00000000786C: D1000015 009A4D24
	v_perm_b32 v24, v21, v20, s51                              // 000000007874: D1ED0018 00CE2915
	v_cmp_u_f32_e64 s[38:39], v26, v26                         // 00000000787C: D0480026 0002351A
	v_add3_u32 v36, v26, v39, 1                                // 000000007884: D1FF0024 02064F1A
	v_cndmask_b32_e64 v20, v36, v38, s[38:39]                  // 00000000788C: D1000014 009A4D24
	v_cmp_u_f32_e64 s[38:39], v27, v27                         // 000000007894: D0480026 0002371B
	v_add3_u32 v36, v27, v39, 1                                // 00000000789C: D1FF0024 02064F1B
	v_cndmask_b32_e64 v21, v36, v38, s[38:39]                  // 0000000078A4: D1000015 009A4D24
	v_perm_b32 v25, v21, v20, s51                              // 0000000078AC: D1ED0019 00CE2915
	ds_write_b64 v5, v[24:25]                                  // 0000000078B4: D89A0000 00001805
	v_mov_b32_e32 v24, v89                                     // 0000000078BC: 7E300359
	v_mov_b32_e32 v25, v93                                     // 0000000078C0: 7E32035D
	v_mov_b32_e32 v26, v97                                     // 0000000078C4: 7E340361
	v_mov_b32_e32 v27, v101                                    // 0000000078C8: 7E360365
	v_mul_f32_e32 v24, s43, v24                                // 0000000078CC: 0A30302B
	v_mul_f32_e32 v25, s43, v25                                // 0000000078D0: 0A32322B
	v_mul_f32_e32 v26, s43, v26                                // 0000000078D4: 0A34342B
	v_mul_f32_e32 v27, s43, v27                                // 0000000078D8: 0A36362B
	v_cmp_u_f32_e64 s[38:39], v24, v24                         // 0000000078DC: D0480026 00023118
	v_add3_u32 v36, v24, v39, 1                                // 0000000078E4: D1FF0024 02064F18
	v_cndmask_b32_e64 v20, v36, v38, s[38:39]                  // 0000000078EC: D1000014 009A4D24
	v_cmp_u_f32_e64 s[38:39], v25, v25                         // 0000000078F4: D0480026 00023319
	v_add3_u32 v36, v25, v39, 1                                // 0000000078FC: D1FF0024 02064F19
	v_cndmask_b32_e64 v21, v36, v38, s[38:39]                  // 000000007904: D1000015 009A4D24
	v_perm_b32 v24, v21, v20, s51                              // 00000000790C: D1ED0018 00CE2915
	v_cmp_u_f32_e64 s[38:39], v26, v26                         // 000000007914: D0480026 0002351A
	v_add3_u32 v36, v26, v39, 1                                // 00000000791C: D1FF0024 02064F1A
	v_cndmask_b32_e64 v20, v36, v38, s[38:39]                  // 000000007924: D1000014 009A4D24
	v_cmp_u_f32_e64 s[38:39], v27, v27                         // 00000000792C: D0480026 0002371B
	v_add3_u32 v36, v27, v39, 1                                // 000000007934: D1FF0024 02064F1B
	v_cndmask_b32_e64 v21, v36, v38, s[38:39]                  // 00000000793C: D1000015 009A4D24
	v_perm_b32 v25, v21, v20, s51                              // 000000007944: D1ED0019 00CE2915
	ds_write_b64 v5, v[24:25] offset:1152                      // 00000000794C: D89A0480 00001805
	v_mov_b32_e32 v24, v90                                     // 000000007954: 7E30035A
	v_mov_b32_e32 v25, v94                                     // 000000007958: 7E32035E
	v_mov_b32_e32 v26, v98                                     // 00000000795C: 7E340362
	v_mov_b32_e32 v27, v102                                    // 000000007960: 7E360366
	v_mul_f32_e32 v24, s43, v24                                // 000000007964: 0A30302B
	v_mul_f32_e32 v25, s43, v25                                // 000000007968: 0A32322B
	v_mul_f32_e32 v26, s43, v26                                // 00000000796C: 0A34342B
	v_mul_f32_e32 v27, s43, v27                                // 000000007970: 0A36362B
	v_cmp_u_f32_e64 s[38:39], v24, v24                         // 000000007974: D0480026 00023118
	v_add3_u32 v36, v24, v39, 1                                // 00000000797C: D1FF0024 02064F18
	v_cndmask_b32_e64 v20, v36, v38, s[38:39]                  // 000000007984: D1000014 009A4D24
	v_cmp_u_f32_e64 s[38:39], v25, v25                         // 00000000798C: D0480026 00023319
	v_add3_u32 v36, v25, v39, 1                                // 000000007994: D1FF0024 02064F19
	v_cndmask_b32_e64 v21, v36, v38, s[38:39]                  // 00000000799C: D1000015 009A4D24
	v_perm_b32 v24, v21, v20, s51                              // 0000000079A4: D1ED0018 00CE2915
	v_cmp_u_f32_e64 s[38:39], v26, v26                         // 0000000079AC: D0480026 0002351A
	v_add3_u32 v36, v26, v39, 1                                // 0000000079B4: D1FF0024 02064F1A
	v_cndmask_b32_e64 v20, v36, v38, s[38:39]                  // 0000000079BC: D1000014 009A4D24
	v_cmp_u_f32_e64 s[38:39], v27, v27                         // 0000000079C4: D0480026 0002371B
	v_add3_u32 v36, v27, v39, 1                                // 0000000079CC: D1FF0024 02064F1B
	v_cndmask_b32_e64 v21, v36, v38, s[38:39]                  // 0000000079D4: D1000015 009A4D24
	v_perm_b32 v25, v21, v20, s51                              // 0000000079DC: D1ED0019 00CE2915
	ds_write_b64 v5, v[24:25] offset:144                       // 0000000079E4: D89A0090 00001805
	v_mov_b32_e32 v24, v91                                     // 0000000079EC: 7E30035B
	v_mov_b32_e32 v25, v95                                     // 0000000079F0: 7E32035F
	v_mov_b32_e32 v26, v99                                     // 0000000079F4: 7E340363
	v_mov_b32_e32 v27, v103                                    // 0000000079F8: 7E360367
	v_mul_f32_e32 v24, s43, v24                                // 0000000079FC: 0A30302B
	v_mul_f32_e32 v25, s43, v25                                // 000000007A00: 0A32322B
	v_mul_f32_e32 v26, s43, v26                                // 000000007A04: 0A34342B
	v_mul_f32_e32 v27, s43, v27                                // 000000007A08: 0A36362B
	v_cmp_u_f32_e64 s[38:39], v24, v24                         // 000000007A0C: D0480026 00023118
	v_add3_u32 v36, v24, v39, 1                                // 000000007A14: D1FF0024 02064F18
	v_cndmask_b32_e64 v20, v36, v38, s[38:39]                  // 000000007A1C: D1000014 009A4D24
	v_cmp_u_f32_e64 s[38:39], v25, v25                         // 000000007A24: D0480026 00023319
	v_add3_u32 v36, v25, v39, 1                                // 000000007A2C: D1FF0024 02064F19
	v_cndmask_b32_e64 v21, v36, v38, s[38:39]                  // 000000007A34: D1000015 009A4D24
	v_perm_b32 v24, v21, v20, s51                              // 000000007A3C: D1ED0018 00CE2915
	v_cmp_u_f32_e64 s[38:39], v26, v26                         // 000000007A44: D0480026 0002351A
	v_add3_u32 v36, v26, v39, 1                                // 000000007A4C: D1FF0024 02064F1A
	v_cndmask_b32_e64 v20, v36, v38, s[38:39]                  // 000000007A54: D1000014 009A4D24
	v_cmp_u_f32_e64 s[38:39], v27, v27                         // 000000007A5C: D0480026 0002371B
	v_add3_u32 v36, v27, v39, 1                                // 000000007A64: D1FF0024 02064F1B
	v_cndmask_b32_e64 v21, v36, v38, s[38:39]                  // 000000007A6C: D1000015 009A4D24
	v_perm_b32 v25, v21, v20, s51                              // 000000007A74: D1ED0019 00CE2915
	ds_write_b64 v5, v[24:25] offset:1296                      // 000000007A7C: D89A0510 00001805
	v_mov_b32_e32 v24, v104                                    // 000000007A84: 7E300368
	v_mov_b32_e32 v25, v108                                    // 000000007A88: 7E32036C
	v_mov_b32_e32 v26, v112                                    // 000000007A8C: 7E340370
	v_mov_b32_e32 v27, v116                                    // 000000007A90: 7E360374
	v_mul_f32_e32 v24, s43, v24                                // 000000007A94: 0A30302B
	v_mul_f32_e32 v25, s43, v25                                // 000000007A98: 0A32322B
	v_mul_f32_e32 v26, s43, v26                                // 000000007A9C: 0A34342B
	v_mul_f32_e32 v27, s43, v27                                // 000000007AA0: 0A36362B
	v_cmp_u_f32_e64 s[38:39], v24, v24                         // 000000007AA4: D0480026 00023118
	v_add3_u32 v36, v24, v39, 1                                // 000000007AAC: D1FF0024 02064F18
	v_cndmask_b32_e64 v20, v36, v38, s[38:39]                  // 000000007AB4: D1000014 009A4D24
	v_cmp_u_f32_e64 s[38:39], v25, v25                         // 000000007ABC: D0480026 00023319
	v_add3_u32 v36, v25, v39, 1                                // 000000007AC4: D1FF0024 02064F19
	v_cndmask_b32_e64 v21, v36, v38, s[38:39]                  // 000000007ACC: D1000015 009A4D24
	v_perm_b32 v24, v21, v20, s51                              // 000000007AD4: D1ED0018 00CE2915
	v_cmp_u_f32_e64 s[38:39], v26, v26                         // 000000007ADC: D0480026 0002351A
	v_add3_u32 v36, v26, v39, 1                                // 000000007AE4: D1FF0024 02064F1A
	v_cndmask_b32_e64 v20, v36, v38, s[38:39]                  // 000000007AEC: D1000014 009A4D24
	v_cmp_u_f32_e64 s[38:39], v27, v27                         // 000000007AF4: D0480026 0002371B
	v_add3_u32 v36, v27, v39, 1                                // 000000007AFC: D1FF0024 02064F1B
	v_cndmask_b32_e64 v21, v36, v38, s[38:39]                  // 000000007B04: D1000015 009A4D24
	v_perm_b32 v25, v21, v20, s51                              // 000000007B0C: D1ED0019 00CE2915
	ds_write_b64 v5, v[24:25] offset:2304                      // 000000007B14: D89A0900 00001805
	v_mov_b32_e32 v24, v105                                    // 000000007B1C: 7E300369
	v_mov_b32_e32 v25, v109                                    // 000000007B20: 7E32036D
	v_mov_b32_e32 v26, v113                                    // 000000007B24: 7E340371
	v_mov_b32_e32 v27, v117                                    // 000000007B28: 7E360375
	v_mul_f32_e32 v24, s43, v24                                // 000000007B2C: 0A30302B
	v_mul_f32_e32 v25, s43, v25                                // 000000007B30: 0A32322B
	v_mul_f32_e32 v26, s43, v26                                // 000000007B34: 0A34342B
	v_mul_f32_e32 v27, s43, v27                                // 000000007B38: 0A36362B
	v_cmp_u_f32_e64 s[38:39], v24, v24                         // 000000007B3C: D0480026 00023118
	v_add3_u32 v36, v24, v39, 1                                // 000000007B44: D1FF0024 02064F18
	v_cndmask_b32_e64 v20, v36, v38, s[38:39]                  // 000000007B4C: D1000014 009A4D24
	v_cmp_u_f32_e64 s[38:39], v25, v25                         // 000000007B54: D0480026 00023319
	v_add3_u32 v36, v25, v39, 1                                // 000000007B5C: D1FF0024 02064F19
	v_cndmask_b32_e64 v21, v36, v38, s[38:39]                  // 000000007B64: D1000015 009A4D24
	v_perm_b32 v24, v21, v20, s51                              // 000000007B6C: D1ED0018 00CE2915
	v_cmp_u_f32_e64 s[38:39], v26, v26                         // 000000007B74: D0480026 0002351A
	v_add3_u32 v36, v26, v39, 1                                // 000000007B7C: D1FF0024 02064F1A
	v_cndmask_b32_e64 v20, v36, v38, s[38:39]                  // 000000007B84: D1000014 009A4D24
	v_cmp_u_f32_e64 s[38:39], v27, v27                         // 000000007B8C: D0480026 0002371B
	v_add3_u32 v36, v27, v39, 1                                // 000000007B94: D1FF0024 02064F1B
	v_cndmask_b32_e64 v21, v36, v38, s[38:39]                  // 000000007B9C: D1000015 009A4D24
	v_perm_b32 v25, v21, v20, s51                              // 000000007BA4: D1ED0019 00CE2915
	ds_write_b64 v5, v[24:25] offset:3456                      // 000000007BAC: D89A0D80 00001805
	v_mov_b32_e32 v24, v106                                    // 000000007BB4: 7E30036A
	v_mov_b32_e32 v25, v110                                    // 000000007BB8: 7E32036E
	v_mov_b32_e32 v26, v114                                    // 000000007BBC: 7E340372
	v_mov_b32_e32 v27, v118                                    // 000000007BC0: 7E360376
	v_mul_f32_e32 v24, s43, v24                                // 000000007BC4: 0A30302B
	v_mul_f32_e32 v25, s43, v25                                // 000000007BC8: 0A32322B
	v_mul_f32_e32 v26, s43, v26                                // 000000007BCC: 0A34342B
	v_mul_f32_e32 v27, s43, v27                                // 000000007BD0: 0A36362B
	v_cmp_u_f32_e64 s[38:39], v24, v24                         // 000000007BD4: D0480026 00023118
	v_add3_u32 v36, v24, v39, 1                                // 000000007BDC: D1FF0024 02064F18
	v_cndmask_b32_e64 v20, v36, v38, s[38:39]                  // 000000007BE4: D1000014 009A4D24
	v_cmp_u_f32_e64 s[38:39], v25, v25                         // 000000007BEC: D0480026 00023319
	v_add3_u32 v36, v25, v39, 1                                // 000000007BF4: D1FF0024 02064F19
	v_cndmask_b32_e64 v21, v36, v38, s[38:39]                  // 000000007BFC: D1000015 009A4D24
	v_perm_b32 v24, v21, v20, s51                              // 000000007C04: D1ED0018 00CE2915
	v_cmp_u_f32_e64 s[38:39], v26, v26                         // 000000007C0C: D0480026 0002351A
	v_add3_u32 v36, v26, v39, 1                                // 000000007C14: D1FF0024 02064F1A
	v_cndmask_b32_e64 v20, v36, v38, s[38:39]                  // 000000007C1C: D1000014 009A4D24
	v_cmp_u_f32_e64 s[38:39], v27, v27                         // 000000007C24: D0480026 0002371B
	v_add3_u32 v36, v27, v39, 1                                // 000000007C2C: D1FF0024 02064F1B
	v_cndmask_b32_e64 v21, v36, v38, s[38:39]                  // 000000007C34: D1000015 009A4D24
	v_perm_b32 v25, v21, v20, s51                              // 000000007C3C: D1ED0019 00CE2915
	ds_write_b64 v5, v[24:25] offset:2448                      // 000000007C44: D89A0990 00001805
	v_mov_b32_e32 v24, v107                                    // 000000007C4C: 7E30036B
	v_mov_b32_e32 v25, v111                                    // 000000007C50: 7E32036F
	v_mov_b32_e32 v26, v115                                    // 000000007C54: 7E340373
	v_mov_b32_e32 v27, v119                                    // 000000007C58: 7E360377
	v_mul_f32_e32 v24, s43, v24                                // 000000007C5C: 0A30302B
	v_mul_f32_e32 v25, s43, v25                                // 000000007C60: 0A32322B
	v_mul_f32_e32 v26, s43, v26                                // 000000007C64: 0A34342B
	v_mul_f32_e32 v27, s43, v27                                // 000000007C68: 0A36362B
	v_cmp_u_f32_e64 s[38:39], v24, v24                         // 000000007C6C: D0480026 00023118
	v_add3_u32 v36, v24, v39, 1                                // 000000007C74: D1FF0024 02064F18
	v_cndmask_b32_e64 v20, v36, v38, s[38:39]                  // 000000007C7C: D1000014 009A4D24
	v_cmp_u_f32_e64 s[38:39], v25, v25                         // 000000007C84: D0480026 00023319
	v_add3_u32 v36, v25, v39, 1                                // 000000007C8C: D1FF0024 02064F19
	v_cndmask_b32_e64 v21, v36, v38, s[38:39]                  // 000000007C94: D1000015 009A4D24
	v_perm_b32 v24, v21, v20, s51                              // 000000007C9C: D1ED0018 00CE2915
	v_cmp_u_f32_e64 s[38:39], v26, v26                         // 000000007CA4: D0480026 0002351A
	v_add3_u32 v36, v26, v39, 1                                // 000000007CAC: D1FF0024 02064F1A
	v_cndmask_b32_e64 v20, v36, v38, s[38:39]                  // 000000007CB4: D1000014 009A4D24
	v_cmp_u_f32_e64 s[38:39], v27, v27                         // 000000007CBC: D0480026 0002371B
	v_add3_u32 v36, v27, v39, 1                                // 000000007CC4: D1FF0024 02064F1B
	v_cndmask_b32_e64 v21, v36, v38, s[38:39]                  // 000000007CCC: D1000015 009A4D24
	v_perm_b32 v25, v21, v20, s51                              // 000000007CD4: D1ED0019 00CE2915
	ds_write_b64 v5, v[24:25] offset:3600                      // 000000007CDC: D89A0E10 00001805
	s_waitcnt lgkmcnt(4)                                       // 000000007CE4: BF8CC47F
	ds_read_b64 v[56:57], v4                                   // 000000007CE8: D8EC0000 38000004
	ds_read_b64 v[60:61], v4 offset:64                         // 000000007CF0: D8EC0040 3C000004
	ds_read_b64 v[58:59], v4 offset:1152                       // 000000007CF8: D8EC0480 3A000004
	ds_read_b64 v[62:63], v4 offset:1216                       // 000000007D00: D8EC04C0 3E000004
	s_waitcnt lgkmcnt(4)                                       // 000000007D08: BF8CC47F
	ds_read_b64 v[64:65], v4 offset:2304                       // 000000007D0C: D8EC0900 40000004
	ds_read_b64 v[68:69], v4 offset:2368                       // 000000007D14: D8EC0940 44000004
	ds_read_b64 v[66:67], v4 offset:3456                       // 000000007D1C: D8EC0D80 42000004
	ds_read_b64 v[70:71], v4 offset:3520                       // 000000007D24: D8EC0DC0 46000004
	s_waitcnt lgkmcnt(0)                                       // 000000007D2C: BF8CC07F
	v_mov_b32_e32 v18, v19                                     // 000000007D30: 7E240313
	buffer_store_dwordx4 v[56:59], v18, s[8:11], 0 offen offset:256// 000000007D34: E07C1100 80023812
	buffer_store_dwordx4 v[64:67], v18, s[8:11], 0 offen offset:384// 000000007D3C: E07C1180 80024012
	v_add_u32_e32 v18, 0x2000, v18                             // 000000007D44: 682424FF 00002000
	buffer_store_dwordx4 v[60:63], v18, s[8:11], 0 offen offset:256// 000000007D4C: E07C1100 80023C12
	buffer_store_dwordx4 v[68:71], v18, s[8:11], 0 offen offset:384// 000000007D54: E07C1180 80024412
	v_add_u32_e32 v18, 0x2000, v18                             // 000000007D5C: 682424FF 00002000
	v_mov_b32_e32 v24, v120                                    // 000000007D64: 7E300378
	v_mov_b32_e32 v25, v124                                    // 000000007D68: 7E32037C
	v_mov_b32_e32 v26, v128                                    // 000000007D6C: 7E340380
	v_mov_b32_e32 v27, v132                                    // 000000007D70: 7E360384
	v_mul_f32_e32 v24, s43, v24                                // 000000007D74: 0A30302B
	v_mul_f32_e32 v25, s43, v25                                // 000000007D78: 0A32322B
	v_mul_f32_e32 v26, s43, v26                                // 000000007D7C: 0A34342B
	v_mul_f32_e32 v27, s43, v27                                // 000000007D80: 0A36362B
	v_cmp_u_f32_e64 s[38:39], v24, v24                         // 000000007D84: D0480026 00023118
	v_add3_u32 v36, v24, v39, 1                                // 000000007D8C: D1FF0024 02064F18
	v_cndmask_b32_e64 v20, v36, v38, s[38:39]                  // 000000007D94: D1000014 009A4D24
	v_cmp_u_f32_e64 s[38:39], v25, v25                         // 000000007D9C: D0480026 00023319
	v_add3_u32 v36, v25, v39, 1                                // 000000007DA4: D1FF0024 02064F19
	v_cndmask_b32_e64 v21, v36, v38, s[38:39]                  // 000000007DAC: D1000015 009A4D24
	v_perm_b32 v24, v21, v20, s51                              // 000000007DB4: D1ED0018 00CE2915
	v_cmp_u_f32_e64 s[38:39], v26, v26                         // 000000007DBC: D0480026 0002351A
	v_add3_u32 v36, v26, v39, 1                                // 000000007DC4: D1FF0024 02064F1A
	v_cndmask_b32_e64 v20, v36, v38, s[38:39]                  // 000000007DCC: D1000014 009A4D24
	v_cmp_u_f32_e64 s[38:39], v27, v27                         // 000000007DD4: D0480026 0002371B
	v_add3_u32 v36, v27, v39, 1                                // 000000007DDC: D1FF0024 02064F1B
	v_cndmask_b32_e64 v21, v36, v38, s[38:39]                  // 000000007DE4: D1000015 009A4D24
	v_perm_b32 v25, v21, v20, s51                              // 000000007DEC: D1ED0019 00CE2915
	ds_write_b64 v5, v[24:25]                                  // 000000007DF4: D89A0000 00001805
	v_mov_b32_e32 v24, v121                                    // 000000007DFC: 7E300379
	v_mov_b32_e32 v25, v125                                    // 000000007E00: 7E32037D
	v_mov_b32_e32 v26, v129                                    // 000000007E04: 7E340381
	v_mov_b32_e32 v27, v133                                    // 000000007E08: 7E360385
	v_mul_f32_e32 v24, s43, v24                                // 000000007E0C: 0A30302B
	v_mul_f32_e32 v25, s43, v25                                // 000000007E10: 0A32322B
	v_mul_f32_e32 v26, s43, v26                                // 000000007E14: 0A34342B
	v_mul_f32_e32 v27, s43, v27                                // 000000007E18: 0A36362B
	v_cmp_u_f32_e64 s[38:39], v24, v24                         // 000000007E1C: D0480026 00023118
	v_add3_u32 v36, v24, v39, 1                                // 000000007E24: D1FF0024 02064F18
	v_cndmask_b32_e64 v20, v36, v38, s[38:39]                  // 000000007E2C: D1000014 009A4D24
	v_cmp_u_f32_e64 s[38:39], v25, v25                         // 000000007E34: D0480026 00023319
	v_add3_u32 v36, v25, v39, 1                                // 000000007E3C: D1FF0024 02064F19
	v_cndmask_b32_e64 v21, v36, v38, s[38:39]                  // 000000007E44: D1000015 009A4D24
	v_perm_b32 v24, v21, v20, s51                              // 000000007E4C: D1ED0018 00CE2915
	v_cmp_u_f32_e64 s[38:39], v26, v26                         // 000000007E54: D0480026 0002351A
	v_add3_u32 v36, v26, v39, 1                                // 000000007E5C: D1FF0024 02064F1A
	v_cndmask_b32_e64 v20, v36, v38, s[38:39]                  // 000000007E64: D1000014 009A4D24
	v_cmp_u_f32_e64 s[38:39], v27, v27                         // 000000007E6C: D0480026 0002371B
	v_add3_u32 v36, v27, v39, 1                                // 000000007E74: D1FF0024 02064F1B
	v_cndmask_b32_e64 v21, v36, v38, s[38:39]                  // 000000007E7C: D1000015 009A4D24
	v_perm_b32 v25, v21, v20, s51                              // 000000007E84: D1ED0019 00CE2915
	ds_write_b64 v5, v[24:25] offset:1152                      // 000000007E8C: D89A0480 00001805
	v_mov_b32_e32 v24, v122                                    // 000000007E94: 7E30037A
	v_mov_b32_e32 v25, v126                                    // 000000007E98: 7E32037E
	v_mov_b32_e32 v26, v130                                    // 000000007E9C: 7E340382
	v_mov_b32_e32 v27, v134                                    // 000000007EA0: 7E360386
	v_mul_f32_e32 v24, s43, v24                                // 000000007EA4: 0A30302B
	v_mul_f32_e32 v25, s43, v25                                // 000000007EA8: 0A32322B
	v_mul_f32_e32 v26, s43, v26                                // 000000007EAC: 0A34342B
	v_mul_f32_e32 v27, s43, v27                                // 000000007EB0: 0A36362B
	v_cmp_u_f32_e64 s[38:39], v24, v24                         // 000000007EB4: D0480026 00023118
	v_add3_u32 v36, v24, v39, 1                                // 000000007EBC: D1FF0024 02064F18
	v_cndmask_b32_e64 v20, v36, v38, s[38:39]                  // 000000007EC4: D1000014 009A4D24
	v_cmp_u_f32_e64 s[38:39], v25, v25                         // 000000007ECC: D0480026 00023319
	v_add3_u32 v36, v25, v39, 1                                // 000000007ED4: D1FF0024 02064F19
	v_cndmask_b32_e64 v21, v36, v38, s[38:39]                  // 000000007EDC: D1000015 009A4D24
	v_perm_b32 v24, v21, v20, s51                              // 000000007EE4: D1ED0018 00CE2915
	v_cmp_u_f32_e64 s[38:39], v26, v26                         // 000000007EEC: D0480026 0002351A
	v_add3_u32 v36, v26, v39, 1                                // 000000007EF4: D1FF0024 02064F1A
	v_cndmask_b32_e64 v20, v36, v38, s[38:39]                  // 000000007EFC: D1000014 009A4D24
	v_cmp_u_f32_e64 s[38:39], v27, v27                         // 000000007F04: D0480026 0002371B
	v_add3_u32 v36, v27, v39, 1                                // 000000007F0C: D1FF0024 02064F1B
	v_cndmask_b32_e64 v21, v36, v38, s[38:39]                  // 000000007F14: D1000015 009A4D24
	v_perm_b32 v25, v21, v20, s51                              // 000000007F1C: D1ED0019 00CE2915
	ds_write_b64 v5, v[24:25] offset:144                       // 000000007F24: D89A0090 00001805
	v_mov_b32_e32 v24, v123                                    // 000000007F2C: 7E30037B
	v_mov_b32_e32 v25, v127                                    // 000000007F30: 7E32037F
	v_mov_b32_e32 v26, v131                                    // 000000007F34: 7E340383
	v_mov_b32_e32 v27, v135                                    // 000000007F38: 7E360387
	v_mul_f32_e32 v24, s43, v24                                // 000000007F3C: 0A30302B
	v_mul_f32_e32 v25, s43, v25                                // 000000007F40: 0A32322B
	v_mul_f32_e32 v26, s43, v26                                // 000000007F44: 0A34342B
	v_mul_f32_e32 v27, s43, v27                                // 000000007F48: 0A36362B
	v_cmp_u_f32_e64 s[38:39], v24, v24                         // 000000007F4C: D0480026 00023118
	v_add3_u32 v36, v24, v39, 1                                // 000000007F54: D1FF0024 02064F18
	v_cndmask_b32_e64 v20, v36, v38, s[38:39]                  // 000000007F5C: D1000014 009A4D24
	v_cmp_u_f32_e64 s[38:39], v25, v25                         // 000000007F64: D0480026 00023319
	v_add3_u32 v36, v25, v39, 1                                // 000000007F6C: D1FF0024 02064F19
	v_cndmask_b32_e64 v21, v36, v38, s[38:39]                  // 000000007F74: D1000015 009A4D24
	v_perm_b32 v24, v21, v20, s51                              // 000000007F7C: D1ED0018 00CE2915
	v_cmp_u_f32_e64 s[38:39], v26, v26                         // 000000007F84: D0480026 0002351A
	v_add3_u32 v36, v26, v39, 1                                // 000000007F8C: D1FF0024 02064F1A
	v_cndmask_b32_e64 v20, v36, v38, s[38:39]                  // 000000007F94: D1000014 009A4D24
	v_cmp_u_f32_e64 s[38:39], v27, v27                         // 000000007F9C: D0480026 0002371B
	v_add3_u32 v36, v27, v39, 1                                // 000000007FA4: D1FF0024 02064F1B
	v_cndmask_b32_e64 v21, v36, v38, s[38:39]                  // 000000007FAC: D1000015 009A4D24
	v_perm_b32 v25, v21, v20, s51                              // 000000007FB4: D1ED0019 00CE2915
	ds_write_b64 v5, v[24:25] offset:1296                      // 000000007FBC: D89A0510 00001805
	v_mov_b32_e32 v24, v136                                    // 000000007FC4: 7E300388
	v_mov_b32_e32 v25, v140                                    // 000000007FC8: 7E32038C
	v_mov_b32_e32 v26, v144                                    // 000000007FCC: 7E340390
	v_mov_b32_e32 v27, v148                                    // 000000007FD0: 7E360394
	v_mul_f32_e32 v24, s43, v24                                // 000000007FD4: 0A30302B
	v_mul_f32_e32 v25, s43, v25                                // 000000007FD8: 0A32322B
	v_mul_f32_e32 v26, s43, v26                                // 000000007FDC: 0A34342B
	v_mul_f32_e32 v27, s43, v27                                // 000000007FE0: 0A36362B
	v_cmp_u_f32_e64 s[38:39], v24, v24                         // 000000007FE4: D0480026 00023118
	v_add3_u32 v36, v24, v39, 1                                // 000000007FEC: D1FF0024 02064F18
	v_cndmask_b32_e64 v20, v36, v38, s[38:39]                  // 000000007FF4: D1000014 009A4D24
	v_cmp_u_f32_e64 s[38:39], v25, v25                         // 000000007FFC: D0480026 00023319
	v_add3_u32 v36, v25, v39, 1                                // 000000008004: D1FF0024 02064F19
	v_cndmask_b32_e64 v21, v36, v38, s[38:39]                  // 00000000800C: D1000015 009A4D24
	v_perm_b32 v24, v21, v20, s51                              // 000000008014: D1ED0018 00CE2915
	v_cmp_u_f32_e64 s[38:39], v26, v26                         // 00000000801C: D0480026 0002351A
	v_add3_u32 v36, v26, v39, 1                                // 000000008024: D1FF0024 02064F1A
	v_cndmask_b32_e64 v20, v36, v38, s[38:39]                  // 00000000802C: D1000014 009A4D24
	v_cmp_u_f32_e64 s[38:39], v27, v27                         // 000000008034: D0480026 0002371B
	v_add3_u32 v36, v27, v39, 1                                // 00000000803C: D1FF0024 02064F1B
	v_cndmask_b32_e64 v21, v36, v38, s[38:39]                  // 000000008044: D1000015 009A4D24
	v_perm_b32 v25, v21, v20, s51                              // 00000000804C: D1ED0019 00CE2915
	ds_write_b64 v5, v[24:25] offset:2304                      // 000000008054: D89A0900 00001805
	v_mov_b32_e32 v24, v137                                    // 00000000805C: 7E300389
	v_mov_b32_e32 v25, v141                                    // 000000008060: 7E32038D
	v_mov_b32_e32 v26, v145                                    // 000000008064: 7E340391
	v_mov_b32_e32 v27, v149                                    // 000000008068: 7E360395
	v_mul_f32_e32 v24, s43, v24                                // 00000000806C: 0A30302B
	v_mul_f32_e32 v25, s43, v25                                // 000000008070: 0A32322B
	v_mul_f32_e32 v26, s43, v26                                // 000000008074: 0A34342B
	v_mul_f32_e32 v27, s43, v27                                // 000000008078: 0A36362B
	v_cmp_u_f32_e64 s[38:39], v24, v24                         // 00000000807C: D0480026 00023118
	v_add3_u32 v36, v24, v39, 1                                // 000000008084: D1FF0024 02064F18
	v_cndmask_b32_e64 v20, v36, v38, s[38:39]                  // 00000000808C: D1000014 009A4D24
	v_cmp_u_f32_e64 s[38:39], v25, v25                         // 000000008094: D0480026 00023319
	v_add3_u32 v36, v25, v39, 1                                // 00000000809C: D1FF0024 02064F19
	v_cndmask_b32_e64 v21, v36, v38, s[38:39]                  // 0000000080A4: D1000015 009A4D24
	v_perm_b32 v24, v21, v20, s51                              // 0000000080AC: D1ED0018 00CE2915
	v_cmp_u_f32_e64 s[38:39], v26, v26                         // 0000000080B4: D0480026 0002351A
	v_add3_u32 v36, v26, v39, 1                                // 0000000080BC: D1FF0024 02064F1A
	v_cndmask_b32_e64 v20, v36, v38, s[38:39]                  // 0000000080C4: D1000014 009A4D24
	v_cmp_u_f32_e64 s[38:39], v27, v27                         // 0000000080CC: D0480026 0002371B
	v_add3_u32 v36, v27, v39, 1                                // 0000000080D4: D1FF0024 02064F1B
	v_cndmask_b32_e64 v21, v36, v38, s[38:39]                  // 0000000080DC: D1000015 009A4D24
	v_perm_b32 v25, v21, v20, s51                              // 0000000080E4: D1ED0019 00CE2915
	ds_write_b64 v5, v[24:25] offset:3456                      // 0000000080EC: D89A0D80 00001805
	v_mov_b32_e32 v24, v138                                    // 0000000080F4: 7E30038A
	v_mov_b32_e32 v25, v142                                    // 0000000080F8: 7E32038E
	v_mov_b32_e32 v26, v146                                    // 0000000080FC: 7E340392
	v_mov_b32_e32 v27, v150                                    // 000000008100: 7E360396
	v_mul_f32_e32 v24, s43, v24                                // 000000008104: 0A30302B
	v_mul_f32_e32 v25, s43, v25                                // 000000008108: 0A32322B
	v_mul_f32_e32 v26, s43, v26                                // 00000000810C: 0A34342B
	v_mul_f32_e32 v27, s43, v27                                // 000000008110: 0A36362B
	v_cmp_u_f32_e64 s[38:39], v24, v24                         // 000000008114: D0480026 00023118
	v_add3_u32 v36, v24, v39, 1                                // 00000000811C: D1FF0024 02064F18
	v_cndmask_b32_e64 v20, v36, v38, s[38:39]                  // 000000008124: D1000014 009A4D24
	v_cmp_u_f32_e64 s[38:39], v25, v25                         // 00000000812C: D0480026 00023319
	v_add3_u32 v36, v25, v39, 1                                // 000000008134: D1FF0024 02064F19
	v_cndmask_b32_e64 v21, v36, v38, s[38:39]                  // 00000000813C: D1000015 009A4D24
	v_perm_b32 v24, v21, v20, s51                              // 000000008144: D1ED0018 00CE2915
	v_cmp_u_f32_e64 s[38:39], v26, v26                         // 00000000814C: D0480026 0002351A
	v_add3_u32 v36, v26, v39, 1                                // 000000008154: D1FF0024 02064F1A
	v_cndmask_b32_e64 v20, v36, v38, s[38:39]                  // 00000000815C: D1000014 009A4D24
	v_cmp_u_f32_e64 s[38:39], v27, v27                         // 000000008164: D0480026 0002371B
	v_add3_u32 v36, v27, v39, 1                                // 00000000816C: D1FF0024 02064F1B
	v_cndmask_b32_e64 v21, v36, v38, s[38:39]                  // 000000008174: D1000015 009A4D24
	v_perm_b32 v25, v21, v20, s51                              // 00000000817C: D1ED0019 00CE2915
	ds_write_b64 v5, v[24:25] offset:2448                      // 000000008184: D89A0990 00001805
	v_mov_b32_e32 v24, v139                                    // 00000000818C: 7E30038B
	v_mov_b32_e32 v25, v143                                    // 000000008190: 7E32038F
	v_mov_b32_e32 v26, v147                                    // 000000008194: 7E340393
	v_mov_b32_e32 v27, v151                                    // 000000008198: 7E360397
	v_mul_f32_e32 v24, s43, v24                                // 00000000819C: 0A30302B
	v_mul_f32_e32 v25, s43, v25                                // 0000000081A0: 0A32322B
	v_mul_f32_e32 v26, s43, v26                                // 0000000081A4: 0A34342B
	v_mul_f32_e32 v27, s43, v27                                // 0000000081A8: 0A36362B
	v_cmp_u_f32_e64 s[38:39], v24, v24                         // 0000000081AC: D0480026 00023118
	v_add3_u32 v36, v24, v39, 1                                // 0000000081B4: D1FF0024 02064F18
	v_cndmask_b32_e64 v20, v36, v38, s[38:39]                  // 0000000081BC: D1000014 009A4D24
	v_cmp_u_f32_e64 s[38:39], v25, v25                         // 0000000081C4: D0480026 00023319
	v_add3_u32 v36, v25, v39, 1                                // 0000000081CC: D1FF0024 02064F19
	v_cndmask_b32_e64 v21, v36, v38, s[38:39]                  // 0000000081D4: D1000015 009A4D24
	v_perm_b32 v24, v21, v20, s51                              // 0000000081DC: D1ED0018 00CE2915
	v_cmp_u_f32_e64 s[38:39], v26, v26                         // 0000000081E4: D0480026 0002351A
	v_add3_u32 v36, v26, v39, 1                                // 0000000081EC: D1FF0024 02064F1A
	v_cndmask_b32_e64 v20, v36, v38, s[38:39]                  // 0000000081F4: D1000014 009A4D24
	v_cmp_u_f32_e64 s[38:39], v27, v27                         // 0000000081FC: D0480026 0002371B
	v_add3_u32 v36, v27, v39, 1                                // 000000008204: D1FF0024 02064F1B
	v_cndmask_b32_e64 v21, v36, v38, s[38:39]                  // 00000000820C: D1000015 009A4D24
	v_perm_b32 v25, v21, v20, s51                              // 000000008214: D1ED0019 00CE2915
	ds_write_b64 v5, v[24:25] offset:3600                      // 00000000821C: D89A0E10 00001805
	s_waitcnt lgkmcnt(4)                                       // 000000008224: BF8CC47F
	ds_read_b64 v[56:57], v4                                   // 000000008228: D8EC0000 38000004
	ds_read_b64 v[60:61], v4 offset:64                         // 000000008230: D8EC0040 3C000004
	ds_read_b64 v[58:59], v4 offset:1152                       // 000000008238: D8EC0480 3A000004
	ds_read_b64 v[62:63], v4 offset:1216                       // 000000008240: D8EC04C0 3E000004
	s_waitcnt lgkmcnt(4)                                       // 000000008248: BF8CC47F
	ds_read_b64 v[64:65], v4 offset:2304                       // 00000000824C: D8EC0900 40000004
	ds_read_b64 v[68:69], v4 offset:2368                       // 000000008254: D8EC0940 44000004
	ds_read_b64 v[66:67], v4 offset:3456                       // 00000000825C: D8EC0D80 42000004
	ds_read_b64 v[70:71], v4 offset:3520                       // 000000008264: D8EC0DC0 46000004
	s_waitcnt lgkmcnt(0)                                       // 00000000826C: BF8CC07F
	v_mov_b32_e32 v18, v19                                     // 000000008270: 7E240313
	buffer_store_dwordx4 v[56:59], v18, s[8:11], 0 offen offset:512// 000000008274: E07C1200 80023812
	buffer_store_dwordx4 v[64:67], v18, s[8:11], 0 offen offset:640// 00000000827C: E07C1280 80024012
	v_add_u32_e32 v18, 0x2000, v18                             // 000000008284: 682424FF 00002000
	buffer_store_dwordx4 v[60:63], v18, s[8:11], 0 offen offset:512// 00000000828C: E07C1200 80023C12
	buffer_store_dwordx4 v[68:71], v18, s[8:11], 0 offen offset:640// 000000008294: E07C1280 80024412
	v_add_u32_e32 v18, 0x2000, v18                             // 00000000829C: 682424FF 00002000
	v_mov_b32_e32 v24, v152                                    // 0000000082A4: 7E300398
	v_mov_b32_e32 v25, v156                                    // 0000000082A8: 7E32039C
	v_mov_b32_e32 v26, v160                                    // 0000000082AC: 7E3403A0
	v_mov_b32_e32 v27, v164                                    // 0000000082B0: 7E3603A4
	v_mul_f32_e32 v24, s43, v24                                // 0000000082B4: 0A30302B
	v_mul_f32_e32 v25, s43, v25                                // 0000000082B8: 0A32322B
	v_mul_f32_e32 v26, s43, v26                                // 0000000082BC: 0A34342B
	v_mul_f32_e32 v27, s43, v27                                // 0000000082C0: 0A36362B
	v_cmp_u_f32_e64 s[38:39], v24, v24                         // 0000000082C4: D0480026 00023118
	v_add3_u32 v36, v24, v39, 1                                // 0000000082CC: D1FF0024 02064F18
	v_cndmask_b32_e64 v20, v36, v38, s[38:39]                  // 0000000082D4: D1000014 009A4D24
	v_cmp_u_f32_e64 s[38:39], v25, v25                         // 0000000082DC: D0480026 00023319
	v_add3_u32 v36, v25, v39, 1                                // 0000000082E4: D1FF0024 02064F19
	v_cndmask_b32_e64 v21, v36, v38, s[38:39]                  // 0000000082EC: D1000015 009A4D24
	v_perm_b32 v24, v21, v20, s51                              // 0000000082F4: D1ED0018 00CE2915
	v_cmp_u_f32_e64 s[38:39], v26, v26                         // 0000000082FC: D0480026 0002351A
	v_add3_u32 v36, v26, v39, 1                                // 000000008304: D1FF0024 02064F1A
	v_cndmask_b32_e64 v20, v36, v38, s[38:39]                  // 00000000830C: D1000014 009A4D24
	v_cmp_u_f32_e64 s[38:39], v27, v27                         // 000000008314: D0480026 0002371B
	v_add3_u32 v36, v27, v39, 1                                // 00000000831C: D1FF0024 02064F1B
	v_cndmask_b32_e64 v21, v36, v38, s[38:39]                  // 000000008324: D1000015 009A4D24
	v_perm_b32 v25, v21, v20, s51                              // 00000000832C: D1ED0019 00CE2915
	ds_write_b64 v5, v[24:25]                                  // 000000008334: D89A0000 00001805
	v_mov_b32_e32 v24, v153                                    // 00000000833C: 7E300399
	v_mov_b32_e32 v25, v157                                    // 000000008340: 7E32039D
	v_mov_b32_e32 v26, v161                                    // 000000008344: 7E3403A1
	v_mov_b32_e32 v27, v165                                    // 000000008348: 7E3603A5
	v_mul_f32_e32 v24, s43, v24                                // 00000000834C: 0A30302B
	v_mul_f32_e32 v25, s43, v25                                // 000000008350: 0A32322B
	v_mul_f32_e32 v26, s43, v26                                // 000000008354: 0A34342B
	v_mul_f32_e32 v27, s43, v27                                // 000000008358: 0A36362B
	v_cmp_u_f32_e64 s[38:39], v24, v24                         // 00000000835C: D0480026 00023118
	v_add3_u32 v36, v24, v39, 1                                // 000000008364: D1FF0024 02064F18
	v_cndmask_b32_e64 v20, v36, v38, s[38:39]                  // 00000000836C: D1000014 009A4D24
	v_cmp_u_f32_e64 s[38:39], v25, v25                         // 000000008374: D0480026 00023319
	v_add3_u32 v36, v25, v39, 1                                // 00000000837C: D1FF0024 02064F19
	v_cndmask_b32_e64 v21, v36, v38, s[38:39]                  // 000000008384: D1000015 009A4D24
	v_perm_b32 v24, v21, v20, s51                              // 00000000838C: D1ED0018 00CE2915
	v_cmp_u_f32_e64 s[38:39], v26, v26                         // 000000008394: D0480026 0002351A
	v_add3_u32 v36, v26, v39, 1                                // 00000000839C: D1FF0024 02064F1A
	v_cndmask_b32_e64 v20, v36, v38, s[38:39]                  // 0000000083A4: D1000014 009A4D24
	v_cmp_u_f32_e64 s[38:39], v27, v27                         // 0000000083AC: D0480026 0002371B
	v_add3_u32 v36, v27, v39, 1                                // 0000000083B4: D1FF0024 02064F1B
	v_cndmask_b32_e64 v21, v36, v38, s[38:39]                  // 0000000083BC: D1000015 009A4D24
	v_perm_b32 v25, v21, v20, s51                              // 0000000083C4: D1ED0019 00CE2915
	ds_write_b64 v5, v[24:25] offset:1152                      // 0000000083CC: D89A0480 00001805
	v_mov_b32_e32 v24, v154                                    // 0000000083D4: 7E30039A
	v_mov_b32_e32 v25, v158                                    // 0000000083D8: 7E32039E
	v_mov_b32_e32 v26, v162                                    // 0000000083DC: 7E3403A2
	v_mov_b32_e32 v27, v166                                    // 0000000083E0: 7E3603A6
	v_mul_f32_e32 v24, s43, v24                                // 0000000083E4: 0A30302B
	v_mul_f32_e32 v25, s43, v25                                // 0000000083E8: 0A32322B
	v_mul_f32_e32 v26, s43, v26                                // 0000000083EC: 0A34342B
	v_mul_f32_e32 v27, s43, v27                                // 0000000083F0: 0A36362B
	v_cmp_u_f32_e64 s[38:39], v24, v24                         // 0000000083F4: D0480026 00023118
	v_add3_u32 v36, v24, v39, 1                                // 0000000083FC: D1FF0024 02064F18
	v_cndmask_b32_e64 v20, v36, v38, s[38:39]                  // 000000008404: D1000014 009A4D24
	v_cmp_u_f32_e64 s[38:39], v25, v25                         // 00000000840C: D0480026 00023319
	v_add3_u32 v36, v25, v39, 1                                // 000000008414: D1FF0024 02064F19
	v_cndmask_b32_e64 v21, v36, v38, s[38:39]                  // 00000000841C: D1000015 009A4D24
	v_perm_b32 v24, v21, v20, s51                              // 000000008424: D1ED0018 00CE2915
	v_cmp_u_f32_e64 s[38:39], v26, v26                         // 00000000842C: D0480026 0002351A
	v_add3_u32 v36, v26, v39, 1                                // 000000008434: D1FF0024 02064F1A
	v_cndmask_b32_e64 v20, v36, v38, s[38:39]                  // 00000000843C: D1000014 009A4D24
	v_cmp_u_f32_e64 s[38:39], v27, v27                         // 000000008444: D0480026 0002371B
	v_add3_u32 v36, v27, v39, 1                                // 00000000844C: D1FF0024 02064F1B
	v_cndmask_b32_e64 v21, v36, v38, s[38:39]                  // 000000008454: D1000015 009A4D24
	v_perm_b32 v25, v21, v20, s51                              // 00000000845C: D1ED0019 00CE2915
	ds_write_b64 v5, v[24:25] offset:144                       // 000000008464: D89A0090 00001805
	v_mov_b32_e32 v24, v155                                    // 00000000846C: 7E30039B
	v_mov_b32_e32 v25, v159                                    // 000000008470: 7E32039F
	v_mov_b32_e32 v26, v163                                    // 000000008474: 7E3403A3
	v_mov_b32_e32 v27, v167                                    // 000000008478: 7E3603A7
	v_mul_f32_e32 v24, s43, v24                                // 00000000847C: 0A30302B
	v_mul_f32_e32 v25, s43, v25                                // 000000008480: 0A32322B
	v_mul_f32_e32 v26, s43, v26                                // 000000008484: 0A34342B
	v_mul_f32_e32 v27, s43, v27                                // 000000008488: 0A36362B
	v_cmp_u_f32_e64 s[38:39], v24, v24                         // 00000000848C: D0480026 00023118
	v_add3_u32 v36, v24, v39, 1                                // 000000008494: D1FF0024 02064F18
	v_cndmask_b32_e64 v20, v36, v38, s[38:39]                  // 00000000849C: D1000014 009A4D24
	v_cmp_u_f32_e64 s[38:39], v25, v25                         // 0000000084A4: D0480026 00023319
	v_add3_u32 v36, v25, v39, 1                                // 0000000084AC: D1FF0024 02064F19
	v_cndmask_b32_e64 v21, v36, v38, s[38:39]                  // 0000000084B4: D1000015 009A4D24
	v_perm_b32 v24, v21, v20, s51                              // 0000000084BC: D1ED0018 00CE2915
	v_cmp_u_f32_e64 s[38:39], v26, v26                         // 0000000084C4: D0480026 0002351A
	v_add3_u32 v36, v26, v39, 1                                // 0000000084CC: D1FF0024 02064F1A
	v_cndmask_b32_e64 v20, v36, v38, s[38:39]                  // 0000000084D4: D1000014 009A4D24
	v_cmp_u_f32_e64 s[38:39], v27, v27                         // 0000000084DC: D0480026 0002371B
	v_add3_u32 v36, v27, v39, 1                                // 0000000084E4: D1FF0024 02064F1B
	v_cndmask_b32_e64 v21, v36, v38, s[38:39]                  // 0000000084EC: D1000015 009A4D24
	v_perm_b32 v25, v21, v20, s51                              // 0000000084F4: D1ED0019 00CE2915
	ds_write_b64 v5, v[24:25] offset:1296                      // 0000000084FC: D89A0510 00001805
	v_mov_b32_e32 v24, v168                                    // 000000008504: 7E3003A8
	v_mov_b32_e32 v25, v172                                    // 000000008508: 7E3203AC
	v_mov_b32_e32 v26, v176                                    // 00000000850C: 7E3403B0
	v_mov_b32_e32 v27, v180                                    // 000000008510: 7E3603B4
	v_mul_f32_e32 v24, s43, v24                                // 000000008514: 0A30302B
	v_mul_f32_e32 v25, s43, v25                                // 000000008518: 0A32322B
	v_mul_f32_e32 v26, s43, v26                                // 00000000851C: 0A34342B
	v_mul_f32_e32 v27, s43, v27                                // 000000008520: 0A36362B
	v_cmp_u_f32_e64 s[38:39], v24, v24                         // 000000008524: D0480026 00023118
	v_add3_u32 v36, v24, v39, 1                                // 00000000852C: D1FF0024 02064F18
	v_cndmask_b32_e64 v20, v36, v38, s[38:39]                  // 000000008534: D1000014 009A4D24
	v_cmp_u_f32_e64 s[38:39], v25, v25                         // 00000000853C: D0480026 00023319
	v_add3_u32 v36, v25, v39, 1                                // 000000008544: D1FF0024 02064F19
	v_cndmask_b32_e64 v21, v36, v38, s[38:39]                  // 00000000854C: D1000015 009A4D24
	v_perm_b32 v24, v21, v20, s51                              // 000000008554: D1ED0018 00CE2915
	v_cmp_u_f32_e64 s[38:39], v26, v26                         // 00000000855C: D0480026 0002351A
	v_add3_u32 v36, v26, v39, 1                                // 000000008564: D1FF0024 02064F1A
	v_cndmask_b32_e64 v20, v36, v38, s[38:39]                  // 00000000856C: D1000014 009A4D24
	v_cmp_u_f32_e64 s[38:39], v27, v27                         // 000000008574: D0480026 0002371B
	v_add3_u32 v36, v27, v39, 1                                // 00000000857C: D1FF0024 02064F1B
	v_cndmask_b32_e64 v21, v36, v38, s[38:39]                  // 000000008584: D1000015 009A4D24
	v_perm_b32 v25, v21, v20, s51                              // 00000000858C: D1ED0019 00CE2915
	ds_write_b64 v5, v[24:25] offset:2304                      // 000000008594: D89A0900 00001805
	v_mov_b32_e32 v24, v169                                    // 00000000859C: 7E3003A9
	v_mov_b32_e32 v25, v173                                    // 0000000085A0: 7E3203AD
	v_mov_b32_e32 v26, v177                                    // 0000000085A4: 7E3403B1
	v_mov_b32_e32 v27, v181                                    // 0000000085A8: 7E3603B5
	v_mul_f32_e32 v24, s43, v24                                // 0000000085AC: 0A30302B
	v_mul_f32_e32 v25, s43, v25                                // 0000000085B0: 0A32322B
	v_mul_f32_e32 v26, s43, v26                                // 0000000085B4: 0A34342B
	v_mul_f32_e32 v27, s43, v27                                // 0000000085B8: 0A36362B
	v_cmp_u_f32_e64 s[38:39], v24, v24                         // 0000000085BC: D0480026 00023118
	v_add3_u32 v36, v24, v39, 1                                // 0000000085C4: D1FF0024 02064F18
	v_cndmask_b32_e64 v20, v36, v38, s[38:39]                  // 0000000085CC: D1000014 009A4D24
	v_cmp_u_f32_e64 s[38:39], v25, v25                         // 0000000085D4: D0480026 00023319
	v_add3_u32 v36, v25, v39, 1                                // 0000000085DC: D1FF0024 02064F19
	v_cndmask_b32_e64 v21, v36, v38, s[38:39]                  // 0000000085E4: D1000015 009A4D24
	v_perm_b32 v24, v21, v20, s51                              // 0000000085EC: D1ED0018 00CE2915
	v_cmp_u_f32_e64 s[38:39], v26, v26                         // 0000000085F4: D0480026 0002351A
	v_add3_u32 v36, v26, v39, 1                                // 0000000085FC: D1FF0024 02064F1A
	v_cndmask_b32_e64 v20, v36, v38, s[38:39]                  // 000000008604: D1000014 009A4D24
	v_cmp_u_f32_e64 s[38:39], v27, v27                         // 00000000860C: D0480026 0002371B
	v_add3_u32 v36, v27, v39, 1                                // 000000008614: D1FF0024 02064F1B
	v_cndmask_b32_e64 v21, v36, v38, s[38:39]                  // 00000000861C: D1000015 009A4D24
	v_perm_b32 v25, v21, v20, s51                              // 000000008624: D1ED0019 00CE2915
	ds_write_b64 v5, v[24:25] offset:3456                      // 00000000862C: D89A0D80 00001805
	v_mov_b32_e32 v24, v170                                    // 000000008634: 7E3003AA
	v_mov_b32_e32 v25, v174                                    // 000000008638: 7E3203AE
	v_mov_b32_e32 v26, v178                                    // 00000000863C: 7E3403B2
	v_mov_b32_e32 v27, v182                                    // 000000008640: 7E3603B6
	v_mul_f32_e32 v24, s43, v24                                // 000000008644: 0A30302B
	v_mul_f32_e32 v25, s43, v25                                // 000000008648: 0A32322B
	v_mul_f32_e32 v26, s43, v26                                // 00000000864C: 0A34342B
	v_mul_f32_e32 v27, s43, v27                                // 000000008650: 0A36362B
	v_cmp_u_f32_e64 s[38:39], v24, v24                         // 000000008654: D0480026 00023118
	v_add3_u32 v36, v24, v39, 1                                // 00000000865C: D1FF0024 02064F18
	v_cndmask_b32_e64 v20, v36, v38, s[38:39]                  // 000000008664: D1000014 009A4D24
	v_cmp_u_f32_e64 s[38:39], v25, v25                         // 00000000866C: D0480026 00023319
	v_add3_u32 v36, v25, v39, 1                                // 000000008674: D1FF0024 02064F19
	v_cndmask_b32_e64 v21, v36, v38, s[38:39]                  // 00000000867C: D1000015 009A4D24
	v_perm_b32 v24, v21, v20, s51                              // 000000008684: D1ED0018 00CE2915
	v_cmp_u_f32_e64 s[38:39], v26, v26                         // 00000000868C: D0480026 0002351A
	v_add3_u32 v36, v26, v39, 1                                // 000000008694: D1FF0024 02064F1A
	v_cndmask_b32_e64 v20, v36, v38, s[38:39]                  // 00000000869C: D1000014 009A4D24
	v_cmp_u_f32_e64 s[38:39], v27, v27                         // 0000000086A4: D0480026 0002371B
	v_add3_u32 v36, v27, v39, 1                                // 0000000086AC: D1FF0024 02064F1B
	v_cndmask_b32_e64 v21, v36, v38, s[38:39]                  // 0000000086B4: D1000015 009A4D24
	v_perm_b32 v25, v21, v20, s51                              // 0000000086BC: D1ED0019 00CE2915
	ds_write_b64 v5, v[24:25] offset:2448                      // 0000000086C4: D89A0990 00001805
	v_mov_b32_e32 v24, v171                                    // 0000000086CC: 7E3003AB
	v_mov_b32_e32 v25, v175                                    // 0000000086D0: 7E3203AF
	v_mov_b32_e32 v26, v179                                    // 0000000086D4: 7E3403B3
	v_mov_b32_e32 v27, v183                                    // 0000000086D8: 7E3603B7
	v_mul_f32_e32 v24, s43, v24                                // 0000000086DC: 0A30302B
	v_mul_f32_e32 v25, s43, v25                                // 0000000086E0: 0A32322B
	v_mul_f32_e32 v26, s43, v26                                // 0000000086E4: 0A34342B
	v_mul_f32_e32 v27, s43, v27                                // 0000000086E8: 0A36362B
	v_cmp_u_f32_e64 s[38:39], v24, v24                         // 0000000086EC: D0480026 00023118
	v_add3_u32 v36, v24, v39, 1                                // 0000000086F4: D1FF0024 02064F18
	v_cndmask_b32_e64 v20, v36, v38, s[38:39]                  // 0000000086FC: D1000014 009A4D24
	v_cmp_u_f32_e64 s[38:39], v25, v25                         // 000000008704: D0480026 00023319
	v_add3_u32 v36, v25, v39, 1                                // 00000000870C: D1FF0024 02064F19
	v_cndmask_b32_e64 v21, v36, v38, s[38:39]                  // 000000008714: D1000015 009A4D24
	v_perm_b32 v24, v21, v20, s51                              // 00000000871C: D1ED0018 00CE2915
	v_cmp_u_f32_e64 s[38:39], v26, v26                         // 000000008724: D0480026 0002351A
	v_add3_u32 v36, v26, v39, 1                                // 00000000872C: D1FF0024 02064F1A
	v_cndmask_b32_e64 v20, v36, v38, s[38:39]                  // 000000008734: D1000014 009A4D24
	v_cmp_u_f32_e64 s[38:39], v27, v27                         // 00000000873C: D0480026 0002371B
	v_add3_u32 v36, v27, v39, 1                                // 000000008744: D1FF0024 02064F1B
	v_cndmask_b32_e64 v21, v36, v38, s[38:39]                  // 00000000874C: D1000015 009A4D24
	v_perm_b32 v25, v21, v20, s51                              // 000000008754: D1ED0019 00CE2915
	ds_write_b64 v5, v[24:25] offset:3600                      // 00000000875C: D89A0E10 00001805
	s_waitcnt lgkmcnt(4)                                       // 000000008764: BF8CC47F
	ds_read_b64 v[56:57], v4                                   // 000000008768: D8EC0000 38000004
	ds_read_b64 v[60:61], v4 offset:64                         // 000000008770: D8EC0040 3C000004
	ds_read_b64 v[58:59], v4 offset:1152                       // 000000008778: D8EC0480 3A000004
	ds_read_b64 v[62:63], v4 offset:1216                       // 000000008780: D8EC04C0 3E000004
	s_waitcnt lgkmcnt(4)                                       // 000000008788: BF8CC47F
	ds_read_b64 v[64:65], v4 offset:2304                       // 00000000878C: D8EC0900 40000004
	ds_read_b64 v[68:69], v4 offset:2368                       // 000000008794: D8EC0940 44000004
	ds_read_b64 v[66:67], v4 offset:3456                       // 00000000879C: D8EC0D80 42000004
	ds_read_b64 v[70:71], v4 offset:3520                       // 0000000087A4: D8EC0DC0 46000004
	s_waitcnt lgkmcnt(0)                                       // 0000000087AC: BF8CC07F
	v_mov_b32_e32 v18, v19                                     // 0000000087B0: 7E240313
	buffer_store_dwordx4 v[56:59], v18, s[8:11], 0 offen offset:768// 0000000087B4: E07C1300 80023812
	buffer_store_dwordx4 v[64:67], v18, s[8:11], 0 offen offset:896// 0000000087BC: E07C1380 80024012
	v_add_u32_e32 v18, 0x2000, v18                             // 0000000087C4: 682424FF 00002000
	buffer_store_dwordx4 v[60:63], v18, s[8:11], 0 offen offset:768// 0000000087CC: E07C1300 80023C12
	buffer_store_dwordx4 v[68:71], v18, s[8:11], 0 offen offset:896// 0000000087D4: E07C1380 80024412
	v_add_u32_e32 v18, 0x2000, v18                             // 0000000087DC: 682424FF 00002000
	s_branch label_1B75                                        // 0000000087E4: BF82023B

00000000000087e8 <label_193A>:
	s_mul_i32 s76, s67, s75                                    // 0000000087E8: 924C4B43
	s_add_u32 s56, s80, s79                                    // 0000000087EC: 80384F50
	v_mov_b32_e32 v20, s56                                     // 0000000087F0: 7E280238
	v_mul_lo_u32 v21, s76, v20                                 // 0000000087F4: D2850015 0002284C
	v_mul_hi_u32 v22, s76, v20                                 // 0000000087FC: D2860016 0002284C
	s_nop 2                                                    // 000000008804: BF800002
	v_readfirstlane_b32 s56, v21                               // 000000008808: 7E700515
	v_readfirstlane_b32 s57, v22                               // 00000000880C: 7E720516
	s_nop 4                                                    // 000000008810: BF800004
	s_add_u32 s8, s56, s8                                      // 000000008814: 80080838
	s_addc_u32 s9, s57, s9                                     // 000000008818: 82090939
	s_sub_u32 s56, s81, s80                                    // 00000000881C: 80B85051
	s_mul_i32 s56, s56, s76                                    // 000000008820: 92384C38
	s_mov_b32 s10, s56                                         // 000000008824: BE8A0038
	v_and_b32_e32 v20, 15, v0                                  // 000000008828: 2628008F
	v_lshlrev_b32_e32 v18, 4, v20                              // 00000000882C: 24242884
	v_lshrrev_b32_e32 v20, 4, v0                               // 000000008830: 20280084
	v_mul_i32_i24_e32 v20, 0x800, v20                          // 000000008834: 0C2828FF 00000800
	v_add_u32_e32 v18, v18, v20                                // 00000000883C: 68242912
	s_mul_i32 s56, s4, s75                                     // 000000008840: 92384B04
	v_add_u32_e64 v18, v18, s56                                // 000000008844: D1340012 00007112
	s_mul_i32 s56, s7, s76                                     // 00000000884C: 92384C07
	v_add_u32_e64 v18, v18, s56                                // 000000008850: D1340012 00007112
	v_mov_b32_e32 v19, v18                                     // 000000008858: 7E260312
	s_mul_i32 s57, 4, s65                                      // 00000000885C: 92394184
	s_mul_i32 s77, s67, s57                                    // 000000008860: 924D3943
	s_add_u32 s56, s80, s79                                    // 000000008864: 80384F50
	s_mul_i32 s56, s56, s77                                    // 000000008868: 92384D38
	s_add_u32 s12, s56, s12                                    // 00000000886C: 800C0C38
	s_addc_u32 s13, 0, s13                                     // 000000008870: 820D0D80
	s_sub_u32 s56, s81, s80                                    // 000000008874: 80B85051
	s_mul_i32 s56, s56, s77                                    // 000000008878: 92384D38
	s_mov_b32 s14, s56                                         // 00000000887C: BE8E0038
	v_and_b32_e32 v26, 15, v0                                  // 000000008880: 2634008F
	v_lshlrev_b32_e32 v26, 2, v26                              // 000000008884: 24343482
	s_mul_i32 s56, s4, s57                                     // 000000008888: 92383904
	v_add_u32_e64 v26, v26, s56                                // 00000000888C: D134001A 0000711A
	s_mul_i32 s56, s7, s77                                     // 000000008894: 92384D07
	v_add_u32_e64 v26, v26, s56                                // 000000008898: D134001A 0000711A
	s_waitcnt vmcnt(0) lgkmcnt(0)                              // 0000000088A0: BF8C0070
	s_barrier                                                  // 0000000088A4: BF8A0000
	v_lshlrev_b32_e32 v5, 2, v0                                // 0000000088A8: 240A0082
	s_mul_i32 s56, s7, 0x840                                   // 0000000088AC: 9238FF07 00000840
	v_add_u32_e32 v5, s56, v5                                  // 0000000088B4: 680A0A38
	v_lshlrev_b32_e32 v5, 2, v5                                // 0000000088B8: 240A0A82
	v_lshrrev_b32_e32 v20, 4, v0                               // 0000000088BC: 20280084
	v_mul_i32_i24_e32 v4, 4, v20                               // 0000000088C0: 0C082884
	v_and_b32_e32 v20, 3, v0                                   // 0000000088C4: 26280083
	v_mul_i32_i24_e32 v20, 0x108, v20                          // 0000000088C8: 0C2828FF 00000108
	v_add_u32_e32 v4, v20, v4                                  // 0000000088D0: 68080914
	v_and_b32_e32 v20, 15, v0                                  // 0000000088D4: 2628008F
	v_lshrrev_b32_e32 v20, 2, v20                              // 0000000088D8: 20282882
	v_mul_i32_i24_e32 v20, 64, v20                             // 0000000088DC: 0C2828C0
	v_add_u32_e32 v4, v20, v4                                  // 0000000088E0: 68080914
	s_mul_i32 s56, s7, 0x840                                   // 0000000088E4: 9238FF07 00000840
	v_add_u32_e32 v4, s56, v4                                  // 0000000088EC: 68080838
	v_lshlrev_b32_e32 v4, 2, v4                                // 0000000088F0: 24080882
	s_mul_i32 s56, 0, s76                                      // 0000000088F4: 92384C80
	v_add_u32_e64 v19, v19, s56                                // 0000000088F8: D1340013 00007113
	v_mov_b32_e32 v20, v56                                     // 000000008900: 7E280338
	v_mov_b32_e32 v21, v60                                     // 000000008904: 7E2A033C
	v_mov_b32_e32 v22, v64                                     // 000000008908: 7E2C0340
	v_mov_b32_e32 v23, v68                                     // 00000000890C: 7E2E0344
	v_mul_f32_e32 v20, s43, v20                                // 000000008910: 0A28282B
	v_mul_f32_e32 v21, s43, v21                                // 000000008914: 0A2A2A2B
	v_mul_f32_e32 v22, s43, v22                                // 000000008918: 0A2C2C2B
	v_mul_f32_e32 v23, s43, v23                                // 00000000891C: 0A2E2E2B
	ds_write_b128 v5, v[20:23]                                 // 000000008920: D9BE0000 00001405
	v_mov_b32_e32 v20, v57                                     // 000000008928: 7E280339
	v_mov_b32_e32 v21, v61                                     // 00000000892C: 7E2A033D
	v_mov_b32_e32 v22, v65                                     // 000000008930: 7E2C0341
	v_mov_b32_e32 v23, v69                                     // 000000008934: 7E2E0345
	v_mul_f32_e32 v20, s43, v20                                // 000000008938: 0A28282B
	v_mul_f32_e32 v21, s43, v21                                // 00000000893C: 0A2A2A2B
	v_mul_f32_e32 v22, s43, v22                                // 000000008940: 0A2C2C2B
	v_mul_f32_e32 v23, s43, v23                                // 000000008944: 0A2E2E2B
	ds_write_b128 v5, v[20:23] offset:1056                     // 000000008948: D9BE0420 00001405
	v_mov_b32_e32 v20, v58                                     // 000000008950: 7E28033A
	v_mov_b32_e32 v21, v62                                     // 000000008954: 7E2A033E
	v_mov_b32_e32 v22, v66                                     // 000000008958: 7E2C0342
	v_mov_b32_e32 v23, v70                                     // 00000000895C: 7E2E0346
	v_mul_f32_e32 v20, s43, v20                                // 000000008960: 0A28282B
	v_mul_f32_e32 v21, s43, v21                                // 000000008964: 0A2A2A2B
	v_mul_f32_e32 v22, s43, v22                                // 000000008968: 0A2C2C2B
	v_mul_f32_e32 v23, s43, v23                                // 00000000896C: 0A2E2E2B
	ds_write_b128 v5, v[20:23] offset:2112                     // 000000008970: D9BE0840 00001405
	v_mov_b32_e32 v20, v59                                     // 000000008978: 7E28033B
	v_mov_b32_e32 v21, v63                                     // 00000000897C: 7E2A033F
	v_mov_b32_e32 v22, v67                                     // 000000008980: 7E2C0343
	v_mov_b32_e32 v23, v71                                     // 000000008984: 7E2E0347
	v_mul_f32_e32 v20, s43, v20                                // 000000008988: 0A28282B
	v_mul_f32_e32 v21, s43, v21                                // 00000000898C: 0A2A2A2B
	v_mul_f32_e32 v22, s43, v22                                // 000000008990: 0A2C2C2B
	v_mul_f32_e32 v23, s43, v23                                // 000000008994: 0A2E2E2B
	ds_write_b128 v5, v[20:23] offset:3168                     // 000000008998: D9BE0C60 00001405
	v_mov_b32_e32 v20, v72                                     // 0000000089A0: 7E280348
	v_mov_b32_e32 v21, v76                                     // 0000000089A4: 7E2A034C
	v_mov_b32_e32 v22, v80                                     // 0000000089A8: 7E2C0350
	v_mov_b32_e32 v23, v84                                     // 0000000089AC: 7E2E0354
	v_mul_f32_e32 v20, s43, v20                                // 0000000089B0: 0A28282B
	v_mul_f32_e32 v21, s43, v21                                // 0000000089B4: 0A2A2A2B
	v_mul_f32_e32 v22, s43, v22                                // 0000000089B8: 0A2C2C2B
	v_mul_f32_e32 v23, s43, v23                                // 0000000089BC: 0A2E2E2B
	ds_write_b128 v5, v[20:23] offset:4224                     // 0000000089C0: D9BE1080 00001405
	v_mov_b32_e32 v20, v73                                     // 0000000089C8: 7E280349
	v_mov_b32_e32 v21, v77                                     // 0000000089CC: 7E2A034D
	v_mov_b32_e32 v22, v81                                     // 0000000089D0: 7E2C0351
	v_mov_b32_e32 v23, v85                                     // 0000000089D4: 7E2E0355
	v_mul_f32_e32 v20, s43, v20                                // 0000000089D8: 0A28282B
	v_mul_f32_e32 v21, s43, v21                                // 0000000089DC: 0A2A2A2B
	v_mul_f32_e32 v22, s43, v22                                // 0000000089E0: 0A2C2C2B
	v_mul_f32_e32 v23, s43, v23                                // 0000000089E4: 0A2E2E2B
	ds_write_b128 v5, v[20:23] offset:5280                     // 0000000089E8: D9BE14A0 00001405
	v_mov_b32_e32 v20, v74                                     // 0000000089F0: 7E28034A
	v_mov_b32_e32 v21, v78                                     // 0000000089F4: 7E2A034E
	v_mov_b32_e32 v22, v82                                     // 0000000089F8: 7E2C0352
	v_mov_b32_e32 v23, v86                                     // 0000000089FC: 7E2E0356
	v_mul_f32_e32 v20, s43, v20                                // 000000008A00: 0A28282B
	v_mul_f32_e32 v21, s43, v21                                // 000000008A04: 0A2A2A2B
	v_mul_f32_e32 v22, s43, v22                                // 000000008A08: 0A2C2C2B
	v_mul_f32_e32 v23, s43, v23                                // 000000008A0C: 0A2E2E2B
	ds_write_b128 v5, v[20:23] offset:6336                     // 000000008A10: D9BE18C0 00001405
	v_mov_b32_e32 v20, v75                                     // 000000008A18: 7E28034B
	v_mov_b32_e32 v21, v79                                     // 000000008A1C: 7E2A034F
	v_mov_b32_e32 v22, v83                                     // 000000008A20: 7E2C0353
	v_mov_b32_e32 v23, v87                                     // 000000008A24: 7E2E0357
	v_mul_f32_e32 v20, s43, v20                                // 000000008A28: 0A28282B
	v_mul_f32_e32 v21, s43, v21                                // 000000008A2C: 0A2A2A2B
	v_mul_f32_e32 v22, s43, v22                                // 000000008A30: 0A2C2C2B
	v_mul_f32_e32 v23, s43, v23                                // 000000008A34: 0A2E2E2B
	ds_write_b128 v5, v[20:23] offset:7392                     // 000000008A38: D9BE1CE0 00001405
	s_waitcnt lgkmcnt(4)                                       // 000000008A40: BF8CC47F
	ds_read_b128 v[56:59], v4                                  // 000000008A44: D9FE0000 38000004
	ds_read_b128 v[60:63], v4 offset:64                        // 000000008A4C: D9FE0040 3C000004
	ds_read_b128 v[64:67], v4 offset:128                       // 000000008A54: D9FE0080 40000004
	ds_read_b128 v[68:71], v4 offset:192                       // 000000008A5C: D9FE00C0 44000004
	s_waitcnt lgkmcnt(4)                                       // 000000008A64: BF8CC47F
	ds_read_b128 v[72:75], v4 offset:4224                      // 000000008A68: D9FE1080 48000004
	ds_read_b128 v[76:79], v4 offset:4288                      // 000000008A70: D9FE10C0 4C000004
	ds_read_b128 v[80:83], v4 offset:4352                      // 000000008A78: D9FE1100 50000004
	ds_read_b128 v[84:87], v4 offset:4416                      // 000000008A80: D9FE1140 54000004
	s_waitcnt lgkmcnt(0)                                       // 000000008A88: BF8CC07F
	v_mov_b32_e32 v18, v19                                     // 000000008A8C: 7E240313
	buffer_store_dwordx4 v[56:59], v18, s[8:11], 0 offen       // 000000008A90: E07C1000 80023812
	buffer_store_dwordx4 v[72:75], v18, s[8:11], 0 offen offset:256// 000000008A98: E07C1100 80024812
	v_add_u32_e32 v18, 0x2000, v18                             // 000000008AA0: 682424FF 00002000
	buffer_store_dwordx4 v[60:63], v18, s[8:11], 0 offen       // 000000008AA8: E07C1000 80023C12
	buffer_store_dwordx4 v[76:79], v18, s[8:11], 0 offen offset:256// 000000008AB0: E07C1100 80024C12
	v_add_u32_e32 v18, 0x2000, v18                             // 000000008AB8: 682424FF 00002000
	buffer_store_dwordx4 v[64:67], v18, s[8:11], 0 offen       // 000000008AC0: E07C1000 80024012
	buffer_store_dwordx4 v[80:83], v18, s[8:11], 0 offen offset:256// 000000008AC8: E07C1100 80025012
	v_add_u32_e32 v18, 0x2000, v18                             // 000000008AD0: 682424FF 00002000
	buffer_store_dwordx4 v[68:71], v18, s[8:11], 0 offen       // 000000008AD8: E07C1000 80024412
	buffer_store_dwordx4 v[84:87], v18, s[8:11], 0 offen offset:256// 000000008AE0: E07C1100 80025412
	v_add_u32_e32 v18, 0x2000, v18                             // 000000008AE8: 682424FF 00002000
	v_mov_b32_e32 v20, v88                                     // 000000008AF0: 7E280358
	v_mov_b32_e32 v21, v92                                     // 000000008AF4: 7E2A035C
	v_mov_b32_e32 v22, v96                                     // 000000008AF8: 7E2C0360
	v_mov_b32_e32 v23, v100                                    // 000000008AFC: 7E2E0364
	v_mul_f32_e32 v20, s43, v20                                // 000000008B00: 0A28282B
	v_mul_f32_e32 v21, s43, v21                                // 000000008B04: 0A2A2A2B
	v_mul_f32_e32 v22, s43, v22                                // 000000008B08: 0A2C2C2B
	v_mul_f32_e32 v23, s43, v23                                // 000000008B0C: 0A2E2E2B
	ds_write_b128 v5, v[20:23]                                 // 000000008B10: D9BE0000 00001405
	v_mov_b32_e32 v20, v89                                     // 000000008B18: 7E280359
	v_mov_b32_e32 v21, v93                                     // 000000008B1C: 7E2A035D
	v_mov_b32_e32 v22, v97                                     // 000000008B20: 7E2C0361
	v_mov_b32_e32 v23, v101                                    // 000000008B24: 7E2E0365
	v_mul_f32_e32 v20, s43, v20                                // 000000008B28: 0A28282B
	v_mul_f32_e32 v21, s43, v21                                // 000000008B2C: 0A2A2A2B
	v_mul_f32_e32 v22, s43, v22                                // 000000008B30: 0A2C2C2B
	v_mul_f32_e32 v23, s43, v23                                // 000000008B34: 0A2E2E2B
	ds_write_b128 v5, v[20:23] offset:1056                     // 000000008B38: D9BE0420 00001405
	v_mov_b32_e32 v20, v90                                     // 000000008B40: 7E28035A
	v_mov_b32_e32 v21, v94                                     // 000000008B44: 7E2A035E
	v_mov_b32_e32 v22, v98                                     // 000000008B48: 7E2C0362
	v_mov_b32_e32 v23, v102                                    // 000000008B4C: 7E2E0366
	v_mul_f32_e32 v20, s43, v20                                // 000000008B50: 0A28282B
	v_mul_f32_e32 v21, s43, v21                                // 000000008B54: 0A2A2A2B
	v_mul_f32_e32 v22, s43, v22                                // 000000008B58: 0A2C2C2B
	v_mul_f32_e32 v23, s43, v23                                // 000000008B5C: 0A2E2E2B
	ds_write_b128 v5, v[20:23] offset:2112                     // 000000008B60: D9BE0840 00001405
	v_mov_b32_e32 v20, v91                                     // 000000008B68: 7E28035B
	v_mov_b32_e32 v21, v95                                     // 000000008B6C: 7E2A035F
	v_mov_b32_e32 v22, v99                                     // 000000008B70: 7E2C0363
	v_mov_b32_e32 v23, v103                                    // 000000008B74: 7E2E0367
	v_mul_f32_e32 v20, s43, v20                                // 000000008B78: 0A28282B
	v_mul_f32_e32 v21, s43, v21                                // 000000008B7C: 0A2A2A2B
	v_mul_f32_e32 v22, s43, v22                                // 000000008B80: 0A2C2C2B
	v_mul_f32_e32 v23, s43, v23                                // 000000008B84: 0A2E2E2B
	ds_write_b128 v5, v[20:23] offset:3168                     // 000000008B88: D9BE0C60 00001405
	v_mov_b32_e32 v20, v104                                    // 000000008B90: 7E280368
	v_mov_b32_e32 v21, v108                                    // 000000008B94: 7E2A036C
	v_mov_b32_e32 v22, v112                                    // 000000008B98: 7E2C0370
	v_mov_b32_e32 v23, v116                                    // 000000008B9C: 7E2E0374
	v_mul_f32_e32 v20, s43, v20                                // 000000008BA0: 0A28282B
	v_mul_f32_e32 v21, s43, v21                                // 000000008BA4: 0A2A2A2B
	v_mul_f32_e32 v22, s43, v22                                // 000000008BA8: 0A2C2C2B
	v_mul_f32_e32 v23, s43, v23                                // 000000008BAC: 0A2E2E2B
	ds_write_b128 v5, v[20:23] offset:4224                     // 000000008BB0: D9BE1080 00001405
	v_mov_b32_e32 v20, v105                                    // 000000008BB8: 7E280369
	v_mov_b32_e32 v21, v109                                    // 000000008BBC: 7E2A036D
	v_mov_b32_e32 v22, v113                                    // 000000008BC0: 7E2C0371
	v_mov_b32_e32 v23, v117                                    // 000000008BC4: 7E2E0375
	v_mul_f32_e32 v20, s43, v20                                // 000000008BC8: 0A28282B
	v_mul_f32_e32 v21, s43, v21                                // 000000008BCC: 0A2A2A2B
	v_mul_f32_e32 v22, s43, v22                                // 000000008BD0: 0A2C2C2B
	v_mul_f32_e32 v23, s43, v23                                // 000000008BD4: 0A2E2E2B
	ds_write_b128 v5, v[20:23] offset:5280                     // 000000008BD8: D9BE14A0 00001405
	v_mov_b32_e32 v20, v106                                    // 000000008BE0: 7E28036A
	v_mov_b32_e32 v21, v110                                    // 000000008BE4: 7E2A036E
	v_mov_b32_e32 v22, v114                                    // 000000008BE8: 7E2C0372
	v_mov_b32_e32 v23, v118                                    // 000000008BEC: 7E2E0376
	v_mul_f32_e32 v20, s43, v20                                // 000000008BF0: 0A28282B
	v_mul_f32_e32 v21, s43, v21                                // 000000008BF4: 0A2A2A2B
	v_mul_f32_e32 v22, s43, v22                                // 000000008BF8: 0A2C2C2B
	v_mul_f32_e32 v23, s43, v23                                // 000000008BFC: 0A2E2E2B
	ds_write_b128 v5, v[20:23] offset:6336                     // 000000008C00: D9BE18C0 00001405
	v_mov_b32_e32 v20, v107                                    // 000000008C08: 7E28036B
	v_mov_b32_e32 v21, v111                                    // 000000008C0C: 7E2A036F
	v_mov_b32_e32 v22, v115                                    // 000000008C10: 7E2C0373
	v_mov_b32_e32 v23, v119                                    // 000000008C14: 7E2E0377
	v_mul_f32_e32 v20, s43, v20                                // 000000008C18: 0A28282B
	v_mul_f32_e32 v21, s43, v21                                // 000000008C1C: 0A2A2A2B
	v_mul_f32_e32 v22, s43, v22                                // 000000008C20: 0A2C2C2B
	v_mul_f32_e32 v23, s43, v23                                // 000000008C24: 0A2E2E2B
	ds_write_b128 v5, v[20:23] offset:7392                     // 000000008C28: D9BE1CE0 00001405
	s_waitcnt lgkmcnt(4)                                       // 000000008C30: BF8CC47F
	ds_read_b128 v[56:59], v4                                  // 000000008C34: D9FE0000 38000004
	ds_read_b128 v[60:63], v4 offset:64                        // 000000008C3C: D9FE0040 3C000004
	ds_read_b128 v[64:67], v4 offset:128                       // 000000008C44: D9FE0080 40000004
	ds_read_b128 v[68:71], v4 offset:192                       // 000000008C4C: D9FE00C0 44000004
	s_waitcnt lgkmcnt(4)                                       // 000000008C54: BF8CC47F
	ds_read_b128 v[72:75], v4 offset:4224                      // 000000008C58: D9FE1080 48000004
	ds_read_b128 v[76:79], v4 offset:4288                      // 000000008C60: D9FE10C0 4C000004
	ds_read_b128 v[80:83], v4 offset:4352                      // 000000008C68: D9FE1100 50000004
	ds_read_b128 v[84:87], v4 offset:4416                      // 000000008C70: D9FE1140 54000004
	s_waitcnt lgkmcnt(0)                                       // 000000008C78: BF8CC07F
	v_mov_b32_e32 v18, v19                                     // 000000008C7C: 7E240313
	buffer_store_dwordx4 v[56:59], v18, s[8:11], 0 offen offset:512// 000000008C80: E07C1200 80023812
	buffer_store_dwordx4 v[72:75], v18, s[8:11], 0 offen offset:768// 000000008C88: E07C1300 80024812
	v_add_u32_e32 v18, 0x2000, v18                             // 000000008C90: 682424FF 00002000
	buffer_store_dwordx4 v[60:63], v18, s[8:11], 0 offen offset:512// 000000008C98: E07C1200 80023C12
	buffer_store_dwordx4 v[76:79], v18, s[8:11], 0 offen offset:768// 000000008CA0: E07C1300 80024C12
	v_add_u32_e32 v18, 0x2000, v18                             // 000000008CA8: 682424FF 00002000
	buffer_store_dwordx4 v[64:67], v18, s[8:11], 0 offen offset:512// 000000008CB0: E07C1200 80024012
	buffer_store_dwordx4 v[80:83], v18, s[8:11], 0 offen offset:768// 000000008CB8: E07C1300 80025012
	v_add_u32_e32 v18, 0x2000, v18                             // 000000008CC0: 682424FF 00002000
	buffer_store_dwordx4 v[68:71], v18, s[8:11], 0 offen offset:512// 000000008CC8: E07C1200 80024412
	buffer_store_dwordx4 v[84:87], v18, s[8:11], 0 offen offset:768// 000000008CD0: E07C1300 80025412
	v_add_u32_e32 v18, 0x2000, v18                             // 000000008CD8: 682424FF 00002000
	v_mov_b32_e32 v20, v120                                    // 000000008CE0: 7E280378
	v_mov_b32_e32 v21, v124                                    // 000000008CE4: 7E2A037C
	v_mov_b32_e32 v22, v128                                    // 000000008CE8: 7E2C0380
	v_mov_b32_e32 v23, v132                                    // 000000008CEC: 7E2E0384
	v_mul_f32_e32 v20, s43, v20                                // 000000008CF0: 0A28282B
	v_mul_f32_e32 v21, s43, v21                                // 000000008CF4: 0A2A2A2B
	v_mul_f32_e32 v22, s43, v22                                // 000000008CF8: 0A2C2C2B
	v_mul_f32_e32 v23, s43, v23                                // 000000008CFC: 0A2E2E2B
	ds_write_b128 v5, v[20:23]                                 // 000000008D00: D9BE0000 00001405
	v_mov_b32_e32 v20, v121                                    // 000000008D08: 7E280379
	v_mov_b32_e32 v21, v125                                    // 000000008D0C: 7E2A037D
	v_mov_b32_e32 v22, v129                                    // 000000008D10: 7E2C0381
	v_mov_b32_e32 v23, v133                                    // 000000008D14: 7E2E0385
	v_mul_f32_e32 v20, s43, v20                                // 000000008D18: 0A28282B
	v_mul_f32_e32 v21, s43, v21                                // 000000008D1C: 0A2A2A2B
	v_mul_f32_e32 v22, s43, v22                                // 000000008D20: 0A2C2C2B
	v_mul_f32_e32 v23, s43, v23                                // 000000008D24: 0A2E2E2B
	ds_write_b128 v5, v[20:23] offset:1056                     // 000000008D28: D9BE0420 00001405
	v_mov_b32_e32 v20, v122                                    // 000000008D30: 7E28037A
	v_mov_b32_e32 v21, v126                                    // 000000008D34: 7E2A037E
	v_mov_b32_e32 v22, v130                                    // 000000008D38: 7E2C0382
	v_mov_b32_e32 v23, v134                                    // 000000008D3C: 7E2E0386
	v_mul_f32_e32 v20, s43, v20                                // 000000008D40: 0A28282B
	v_mul_f32_e32 v21, s43, v21                                // 000000008D44: 0A2A2A2B
	v_mul_f32_e32 v22, s43, v22                                // 000000008D48: 0A2C2C2B
	v_mul_f32_e32 v23, s43, v23                                // 000000008D4C: 0A2E2E2B
	ds_write_b128 v5, v[20:23] offset:2112                     // 000000008D50: D9BE0840 00001405
	v_mov_b32_e32 v20, v123                                    // 000000008D58: 7E28037B
	v_mov_b32_e32 v21, v127                                    // 000000008D5C: 7E2A037F
	v_mov_b32_e32 v22, v131                                    // 000000008D60: 7E2C0383
	v_mov_b32_e32 v23, v135                                    // 000000008D64: 7E2E0387
	v_mul_f32_e32 v20, s43, v20                                // 000000008D68: 0A28282B
	v_mul_f32_e32 v21, s43, v21                                // 000000008D6C: 0A2A2A2B
	v_mul_f32_e32 v22, s43, v22                                // 000000008D70: 0A2C2C2B
	v_mul_f32_e32 v23, s43, v23                                // 000000008D74: 0A2E2E2B
	ds_write_b128 v5, v[20:23] offset:3168                     // 000000008D78: D9BE0C60 00001405
	v_mov_b32_e32 v20, v136                                    // 000000008D80: 7E280388
	v_mov_b32_e32 v21, v140                                    // 000000008D84: 7E2A038C
	v_mov_b32_e32 v22, v144                                    // 000000008D88: 7E2C0390
	v_mov_b32_e32 v23, v148                                    // 000000008D8C: 7E2E0394
	v_mul_f32_e32 v20, s43, v20                                // 000000008D90: 0A28282B
	v_mul_f32_e32 v21, s43, v21                                // 000000008D94: 0A2A2A2B
	v_mul_f32_e32 v22, s43, v22                                // 000000008D98: 0A2C2C2B
	v_mul_f32_e32 v23, s43, v23                                // 000000008D9C: 0A2E2E2B
	ds_write_b128 v5, v[20:23] offset:4224                     // 000000008DA0: D9BE1080 00001405
	v_mov_b32_e32 v20, v137                                    // 000000008DA8: 7E280389
	v_mov_b32_e32 v21, v141                                    // 000000008DAC: 7E2A038D
	v_mov_b32_e32 v22, v145                                    // 000000008DB0: 7E2C0391
	v_mov_b32_e32 v23, v149                                    // 000000008DB4: 7E2E0395
	v_mul_f32_e32 v20, s43, v20                                // 000000008DB8: 0A28282B
	v_mul_f32_e32 v21, s43, v21                                // 000000008DBC: 0A2A2A2B
	v_mul_f32_e32 v22, s43, v22                                // 000000008DC0: 0A2C2C2B
	v_mul_f32_e32 v23, s43, v23                                // 000000008DC4: 0A2E2E2B
	ds_write_b128 v5, v[20:23] offset:5280                     // 000000008DC8: D9BE14A0 00001405
	v_mov_b32_e32 v20, v138                                    // 000000008DD0: 7E28038A
	v_mov_b32_e32 v21, v142                                    // 000000008DD4: 7E2A038E
	v_mov_b32_e32 v22, v146                                    // 000000008DD8: 7E2C0392
	v_mov_b32_e32 v23, v150                                    // 000000008DDC: 7E2E0396
	v_mul_f32_e32 v20, s43, v20                                // 000000008DE0: 0A28282B
	v_mul_f32_e32 v21, s43, v21                                // 000000008DE4: 0A2A2A2B
	v_mul_f32_e32 v22, s43, v22                                // 000000008DE8: 0A2C2C2B
	v_mul_f32_e32 v23, s43, v23                                // 000000008DEC: 0A2E2E2B
	ds_write_b128 v5, v[20:23] offset:6336                     // 000000008DF0: D9BE18C0 00001405
	v_mov_b32_e32 v20, v139                                    // 000000008DF8: 7E28038B
	v_mov_b32_e32 v21, v143                                    // 000000008DFC: 7E2A038F
	v_mov_b32_e32 v22, v147                                    // 000000008E00: 7E2C0393
	v_mov_b32_e32 v23, v151                                    // 000000008E04: 7E2E0397
	v_mul_f32_e32 v20, s43, v20                                // 000000008E08: 0A28282B
	v_mul_f32_e32 v21, s43, v21                                // 000000008E0C: 0A2A2A2B
	v_mul_f32_e32 v22, s43, v22                                // 000000008E10: 0A2C2C2B
	v_mul_f32_e32 v23, s43, v23                                // 000000008E14: 0A2E2E2B
	ds_write_b128 v5, v[20:23] offset:7392                     // 000000008E18: D9BE1CE0 00001405
	s_waitcnt lgkmcnt(4)                                       // 000000008E20: BF8CC47F
	ds_read_b128 v[56:59], v4                                  // 000000008E24: D9FE0000 38000004
	ds_read_b128 v[60:63], v4 offset:64                        // 000000008E2C: D9FE0040 3C000004
	ds_read_b128 v[64:67], v4 offset:128                       // 000000008E34: D9FE0080 40000004
	ds_read_b128 v[68:71], v4 offset:192                       // 000000008E3C: D9FE00C0 44000004
	s_waitcnt lgkmcnt(4)                                       // 000000008E44: BF8CC47F
	ds_read_b128 v[72:75], v4 offset:4224                      // 000000008E48: D9FE1080 48000004
	ds_read_b128 v[76:79], v4 offset:4288                      // 000000008E50: D9FE10C0 4C000004
	ds_read_b128 v[80:83], v4 offset:4352                      // 000000008E58: D9FE1100 50000004
	ds_read_b128 v[84:87], v4 offset:4416                      // 000000008E60: D9FE1140 54000004
	s_waitcnt lgkmcnt(0)                                       // 000000008E68: BF8CC07F
	v_mov_b32_e32 v18, v19                                     // 000000008E6C: 7E240313
	buffer_store_dwordx4 v[56:59], v18, s[8:11], 0 offen offset:1024// 000000008E70: E07C1400 80023812
	buffer_store_dwordx4 v[72:75], v18, s[8:11], 0 offen offset:1280// 000000008E78: E07C1500 80024812
	v_add_u32_e32 v18, 0x2000, v18                             // 000000008E80: 682424FF 00002000
	buffer_store_dwordx4 v[60:63], v18, s[8:11], 0 offen offset:1024// 000000008E88: E07C1400 80023C12
	buffer_store_dwordx4 v[76:79], v18, s[8:11], 0 offen offset:1280// 000000008E90: E07C1500 80024C12
	v_add_u32_e32 v18, 0x2000, v18                             // 000000008E98: 682424FF 00002000
	buffer_store_dwordx4 v[64:67], v18, s[8:11], 0 offen offset:1024// 000000008EA0: E07C1400 80024012
	buffer_store_dwordx4 v[80:83], v18, s[8:11], 0 offen offset:1280// 000000008EA8: E07C1500 80025012
	v_add_u32_e32 v18, 0x2000, v18                             // 000000008EB0: 682424FF 00002000
	buffer_store_dwordx4 v[68:71], v18, s[8:11], 0 offen offset:1024// 000000008EB8: E07C1400 80024412
	buffer_store_dwordx4 v[84:87], v18, s[8:11], 0 offen offset:1280// 000000008EC0: E07C1500 80025412
	v_add_u32_e32 v18, 0x2000, v18                             // 000000008EC8: 682424FF 00002000
	v_mov_b32_e32 v20, v152                                    // 000000008ED0: 7E280398
	v_mov_b32_e32 v21, v156                                    // 000000008ED4: 7E2A039C
	v_mov_b32_e32 v22, v160                                    // 000000008ED8: 7E2C03A0
	v_mov_b32_e32 v23, v164                                    // 000000008EDC: 7E2E03A4
	v_mul_f32_e32 v20, s43, v20                                // 000000008EE0: 0A28282B
	v_mul_f32_e32 v21, s43, v21                                // 000000008EE4: 0A2A2A2B
	v_mul_f32_e32 v22, s43, v22                                // 000000008EE8: 0A2C2C2B
	v_mul_f32_e32 v23, s43, v23                                // 000000008EEC: 0A2E2E2B
	ds_write_b128 v5, v[20:23]                                 // 000000008EF0: D9BE0000 00001405
	v_mov_b32_e32 v20, v153                                    // 000000008EF8: 7E280399
	v_mov_b32_e32 v21, v157                                    // 000000008EFC: 7E2A039D
	v_mov_b32_e32 v22, v161                                    // 000000008F00: 7E2C03A1
	v_mov_b32_e32 v23, v165                                    // 000000008F04: 7E2E03A5
	v_mul_f32_e32 v20, s43, v20                                // 000000008F08: 0A28282B
	v_mul_f32_e32 v21, s43, v21                                // 000000008F0C: 0A2A2A2B
	v_mul_f32_e32 v22, s43, v22                                // 000000008F10: 0A2C2C2B
	v_mul_f32_e32 v23, s43, v23                                // 000000008F14: 0A2E2E2B
	ds_write_b128 v5, v[20:23] offset:1056                     // 000000008F18: D9BE0420 00001405
	v_mov_b32_e32 v20, v154                                    // 000000008F20: 7E28039A
	v_mov_b32_e32 v21, v158                                    // 000000008F24: 7E2A039E
	v_mov_b32_e32 v22, v162                                    // 000000008F28: 7E2C03A2
	v_mov_b32_e32 v23, v166                                    // 000000008F2C: 7E2E03A6
	v_mul_f32_e32 v20, s43, v20                                // 000000008F30: 0A28282B
	v_mul_f32_e32 v21, s43, v21                                // 000000008F34: 0A2A2A2B
	v_mul_f32_e32 v22, s43, v22                                // 000000008F38: 0A2C2C2B
	v_mul_f32_e32 v23, s43, v23                                // 000000008F3C: 0A2E2E2B
	ds_write_b128 v5, v[20:23] offset:2112                     // 000000008F40: D9BE0840 00001405
	v_mov_b32_e32 v20, v155                                    // 000000008F48: 7E28039B
	v_mov_b32_e32 v21, v159                                    // 000000008F4C: 7E2A039F
	v_mov_b32_e32 v22, v163                                    // 000000008F50: 7E2C03A3
	v_mov_b32_e32 v23, v167                                    // 000000008F54: 7E2E03A7
	v_mul_f32_e32 v20, s43, v20                                // 000000008F58: 0A28282B
	v_mul_f32_e32 v21, s43, v21                                // 000000008F5C: 0A2A2A2B
	v_mul_f32_e32 v22, s43, v22                                // 000000008F60: 0A2C2C2B
	v_mul_f32_e32 v23, s43, v23                                // 000000008F64: 0A2E2E2B
	ds_write_b128 v5, v[20:23] offset:3168                     // 000000008F68: D9BE0C60 00001405
	v_mov_b32_e32 v20, v168                                    // 000000008F70: 7E2803A8
	v_mov_b32_e32 v21, v172                                    // 000000008F74: 7E2A03AC
	v_mov_b32_e32 v22, v176                                    // 000000008F78: 7E2C03B0
	v_mov_b32_e32 v23, v180                                    // 000000008F7C: 7E2E03B4
	v_mul_f32_e32 v20, s43, v20                                // 000000008F80: 0A28282B
	v_mul_f32_e32 v21, s43, v21                                // 000000008F84: 0A2A2A2B
	v_mul_f32_e32 v22, s43, v22                                // 000000008F88: 0A2C2C2B
	v_mul_f32_e32 v23, s43, v23                                // 000000008F8C: 0A2E2E2B
	ds_write_b128 v5, v[20:23] offset:4224                     // 000000008F90: D9BE1080 00001405
	v_mov_b32_e32 v20, v169                                    // 000000008F98: 7E2803A9
	v_mov_b32_e32 v21, v173                                    // 000000008F9C: 7E2A03AD
	v_mov_b32_e32 v22, v177                                    // 000000008FA0: 7E2C03B1
	v_mov_b32_e32 v23, v181                                    // 000000008FA4: 7E2E03B5
	v_mul_f32_e32 v20, s43, v20                                // 000000008FA8: 0A28282B
	v_mul_f32_e32 v21, s43, v21                                // 000000008FAC: 0A2A2A2B
	v_mul_f32_e32 v22, s43, v22                                // 000000008FB0: 0A2C2C2B
	v_mul_f32_e32 v23, s43, v23                                // 000000008FB4: 0A2E2E2B
	ds_write_b128 v5, v[20:23] offset:5280                     // 000000008FB8: D9BE14A0 00001405
	v_mov_b32_e32 v20, v170                                    // 000000008FC0: 7E2803AA
	v_mov_b32_e32 v21, v174                                    // 000000008FC4: 7E2A03AE
	v_mov_b32_e32 v22, v178                                    // 000000008FC8: 7E2C03B2
	v_mov_b32_e32 v23, v182                                    // 000000008FCC: 7E2E03B6
	v_mul_f32_e32 v20, s43, v20                                // 000000008FD0: 0A28282B
	v_mul_f32_e32 v21, s43, v21                                // 000000008FD4: 0A2A2A2B
	v_mul_f32_e32 v22, s43, v22                                // 000000008FD8: 0A2C2C2B
	v_mul_f32_e32 v23, s43, v23                                // 000000008FDC: 0A2E2E2B
	ds_write_b128 v5, v[20:23] offset:6336                     // 000000008FE0: D9BE18C0 00001405
	v_mov_b32_e32 v20, v171                                    // 000000008FE8: 7E2803AB
	v_mov_b32_e32 v21, v175                                    // 000000008FEC: 7E2A03AF
	v_mov_b32_e32 v22, v179                                    // 000000008FF0: 7E2C03B3
	v_mov_b32_e32 v23, v183                                    // 000000008FF4: 7E2E03B7
	v_mul_f32_e32 v20, s43, v20                                // 000000008FF8: 0A28282B
	v_mul_f32_e32 v21, s43, v21                                // 000000008FFC: 0A2A2A2B
	v_mul_f32_e32 v22, s43, v22                                // 000000009000: 0A2C2C2B
	v_mul_f32_e32 v23, s43, v23                                // 000000009004: 0A2E2E2B
	ds_write_b128 v5, v[20:23] offset:7392                     // 000000009008: D9BE1CE0 00001405
	s_waitcnt lgkmcnt(4)                                       // 000000009010: BF8CC47F
	ds_read_b128 v[56:59], v4                                  // 000000009014: D9FE0000 38000004
	ds_read_b128 v[60:63], v4 offset:64                        // 00000000901C: D9FE0040 3C000004
	ds_read_b128 v[64:67], v4 offset:128                       // 000000009024: D9FE0080 40000004
	ds_read_b128 v[68:71], v4 offset:192                       // 00000000902C: D9FE00C0 44000004
	s_waitcnt lgkmcnt(4)                                       // 000000009034: BF8CC47F
	ds_read_b128 v[72:75], v4 offset:4224                      // 000000009038: D9FE1080 48000004
	ds_read_b128 v[76:79], v4 offset:4288                      // 000000009040: D9FE10C0 4C000004
	ds_read_b128 v[80:83], v4 offset:4352                      // 000000009048: D9FE1100 50000004
	ds_read_b128 v[84:87], v4 offset:4416                      // 000000009050: D9FE1140 54000004
	s_waitcnt lgkmcnt(0)                                       // 000000009058: BF8CC07F
	v_mov_b32_e32 v18, v19                                     // 00000000905C: 7E240313
	buffer_store_dwordx4 v[56:59], v18, s[8:11], 0 offen offset:1536// 000000009060: E07C1600 80023812
	buffer_store_dwordx4 v[72:75], v18, s[8:11], 0 offen offset:1792// 000000009068: E07C1700 80024812
	v_add_u32_e32 v18, 0x2000, v18                             // 000000009070: 682424FF 00002000
	buffer_store_dwordx4 v[60:63], v18, s[8:11], 0 offen offset:1536// 000000009078: E07C1600 80023C12
	buffer_store_dwordx4 v[76:79], v18, s[8:11], 0 offen offset:1792// 000000009080: E07C1700 80024C12
	v_add_u32_e32 v18, 0x2000, v18                             // 000000009088: 682424FF 00002000
	buffer_store_dwordx4 v[64:67], v18, s[8:11], 0 offen offset:1536// 000000009090: E07C1600 80024012
	buffer_store_dwordx4 v[80:83], v18, s[8:11], 0 offen offset:1792// 000000009098: E07C1700 80025012
	v_add_u32_e32 v18, 0x2000, v18                             // 0000000090A0: 682424FF 00002000
	buffer_store_dwordx4 v[68:71], v18, s[8:11], 0 offen offset:1536// 0000000090A8: E07C1600 80024412
	buffer_store_dwordx4 v[84:87], v18, s[8:11], 0 offen offset:1792// 0000000090B0: E07C1700 80025412
	v_add_u32_e32 v18, 0x2000, v18                             // 0000000090B8: 682424FF 00002000
	buffer_store_dword v24, v26, s[12:15], 0 offen             // 0000000090C0: E0701000 8003181A
	s_mul_i32 s56, 4, s77                                      // 0000000090C8: 92384D84
	v_add_u32_e64 v26, v26, s56                                // 0000000090CC: D134001A 0000711A

00000000000090d4 <label_1B75>:
	s_waitcnt vmcnt(0) expcnt(0) lgkmcnt(0)                    // 0000000090D4: BF8C0000
	s_endpgm                                                   // 0000000090D8: BF810000
